;; amdgpu-corpus repo=ROCm/rocFFT kind=compiled arch=gfx1030 opt=O3
	.text
	.amdgcn_target "amdgcn-amd-amdhsa--gfx1030"
	.amdhsa_code_object_version 6
	.protected	bluestein_single_back_len1664_dim1_half_op_CI_CI ; -- Begin function bluestein_single_back_len1664_dim1_half_op_CI_CI
	.globl	bluestein_single_back_len1664_dim1_half_op_CI_CI
	.p2align	8
	.type	bluestein_single_back_len1664_dim1_half_op_CI_CI,@function
bluestein_single_back_len1664_dim1_half_op_CI_CI: ; @bluestein_single_back_len1664_dim1_half_op_CI_CI
; %bb.0:
	s_load_dwordx4 s[0:3], s[4:5], 0x28
	v_mul_u32_u24_e32 v1, 0x13c, v0
	v_mov_b32_e32 v7, 0
	v_lshrrev_b32_e32 v1, 16, v1
	v_add_nc_u32_e32 v6, s6, v1
	s_waitcnt lgkmcnt(0)
	v_cmp_gt_u64_e32 vcc_lo, s[0:1], v[6:7]
	s_and_saveexec_b32 s0, vcc_lo
	s_cbranch_execz .LBB0_15
; %bb.1:
	v_mul_lo_u16 v1, 0xd0, v1
	s_clause 0x1
	s_load_dwordx2 s[12:13], s[4:5], 0x0
	s_load_dwordx2 s[6:7], s[4:5], 0x38
	v_sub_nc_u16 v0, v0, v1
	v_and_b32_e32 v29, 0xffff, v0
	v_cmp_gt_u16_e32 vcc_lo, 0x80, v0
	v_lshlrev_b32_e32 v23, 2, v29
	v_or_b32_e32 v30, 0x80, v29
	v_or_b32_e32 v31, 0x100, v29
	;; [unrolled: 1-line block ×12, first 2 shown]
	s_and_saveexec_b32 s1, vcc_lo
	s_cbranch_execz .LBB0_3
; %bb.2:
	s_load_dwordx2 s[8:9], s[4:5], 0x18
	s_waitcnt lgkmcnt(0)
	s_load_dwordx4 s[8:11], s[8:9], 0x0
	s_clause 0x3
	global_load_dword v40, v23, s[12:13]
	global_load_dword v41, v23, s[12:13] offset:512
	global_load_dword v42, v23, s[12:13] offset:1024
	;; [unrolled: 1-line block ×3, first 2 shown]
	s_waitcnt lgkmcnt(0)
	v_mad_u64_u32 v[0:1], null, s10, v6, 0
	v_mad_u64_u32 v[2:3], null, s8, v29, 0
	;; [unrolled: 1-line block ×9, first 2 shown]
	v_mov_b32_e32 v1, v17
	v_mad_u64_u32 v[13:14], null, s8, v27, 0
	v_mad_u64_u32 v[35:36], null, s9, v31, v[8:9]
	v_mov_b32_e32 v3, v33
	v_lshlrev_b64 v[0:1], 2, v[0:1]
	v_mad_u64_u32 v[36:37], null, s9, v32, v[10:11]
	v_mov_b32_e32 v5, v34
	v_mad_u64_u32 v[37:38], null, s9, v28, v[12:13]
	v_mad_u64_u32 v[15:16], null, s8, v26, 0
	v_lshlrev_b64 v[2:3], 2, v[2:3]
	v_mov_b32_e32 v8, v35
	v_add_co_u32 v17, s0, s2, v0
	v_lshlrev_b64 v[4:5], 2, v[4:5]
	v_add_co_ci_u32_e64 v18, s0, s3, v1, s0
	v_mov_b32_e32 v10, v36
	v_lshlrev_b64 v[7:8], 2, v[7:8]
	v_add_co_u32 v2, s0, v17, v2
	v_mov_b32_e32 v12, v37
	v_mad_u64_u32 v[38:39], null, s9, v27, v[14:15]
	v_add_co_ci_u32_e64 v3, s0, v18, v3, s0
	v_lshlrev_b64 v[9:10], 2, v[9:10]
	v_add_co_u32 v4, s0, v17, v4
	v_add_co_ci_u32_e64 v5, s0, v18, v5, s0
	v_lshlrev_b64 v[0:1], 2, v[11:12]
	v_add_co_u32 v7, s0, v17, v7
	v_add_co_ci_u32_e64 v8, s0, v18, v8, s0
	v_add_co_u32 v9, s0, v17, v9
	v_mov_b32_e32 v14, v38
	v_add_co_ci_u32_e64 v10, s0, v18, v10, s0
	v_add_co_u32 v0, s0, v17, v0
	v_add_co_ci_u32_e64 v1, s0, v18, v1, s0
	s_clause 0x4
	global_load_dword v33, v[2:3], off
	global_load_dword v34, v[4:5], off
	;; [unrolled: 1-line block ×5, first 2 shown]
	v_lshlrev_b64 v[0:1], 2, v[13:14]
	v_mad_u64_u32 v[2:3], null, s9, v26, v[16:17]
	v_mad_u64_u32 v[3:4], null, s8, v25, 0
	v_lshlrev_b32_e32 v5, 2, v28
	v_add_co_u32 v0, s0, v17, v0
	v_add_co_ci_u32_e64 v1, s0, v18, v1, s0
	v_mov_b32_e32 v16, v2
	v_lshlrev_b32_e32 v7, 2, v27
	v_mov_b32_e32 v2, v4
	global_load_dword v39, v[0:1], off
	global_load_dword v38, v5, s[12:13]
	v_lshlrev_b64 v[0:1], 2, v[15:16]
	global_load_dword v44, v7, s[12:13]
	v_mad_u64_u32 v[7:8], null, s8, v24, 0
	v_mad_u64_u32 v[4:5], null, s9, v25, v[2:3]
	v_add_co_u32 v0, s0, v17, v0
	v_add_co_ci_u32_e64 v1, s0, v18, v1, s0
	v_mad_u64_u32 v[9:10], null, s8, v22, 0
	v_mov_b32_e32 v2, v8
	global_load_dword v45, v[0:1], off
	v_lshlrev_b64 v[0:1], 2, v[3:4]
	v_lshlrev_b32_e32 v4, 2, v25
	v_lshlrev_b32_e32 v5, 2, v26
	v_mad_u64_u32 v[2:3], null, s9, v24, v[2:3]
	v_mov_b32_e32 v3, v10
	v_add_co_u32 v0, s0, v17, v0
	v_add_co_ci_u32_e64 v1, s0, v18, v1, s0
	global_load_dword v46, v5, s[12:13]
	v_mov_b32_e32 v8, v2
	v_mad_u64_u32 v[2:3], null, s9, v22, v[3:4]
	global_load_dword v47, v[0:1], off
	global_load_dword v48, v4, s[12:13]
	v_mad_u64_u32 v[3:4], null, s8, v21, 0
	v_lshlrev_b64 v[0:1], 2, v[7:8]
	v_mad_u64_u32 v[7:8], null, s8, v20, 0
	v_mov_b32_e32 v10, v2
	v_mad_u64_u32 v[11:12], null, s8, v19, 0
	v_mov_b32_e32 v2, v4
	v_lshlrev_b32_e32 v5, 2, v24
	v_add_co_u32 v0, s0, v17, v0
	v_mov_b32_e32 v4, v8
	v_lshlrev_b64 v[8:9], 2, v[9:10]
	v_mad_u64_u32 v[13:14], null, s9, v21, v[2:3]
	v_mov_b32_e32 v2, v12
	v_add_co_ci_u32_e64 v1, s0, v18, v1, s0
	v_mad_u64_u32 v[14:15], null, s9, v20, v[4:5]
	v_add_co_u32 v15, s0, v17, v8
	v_add_co_ci_u32_e64 v16, s0, v18, v9, s0
	v_mad_u64_u32 v[9:10], null, s9, v19, v[2:3]
	v_mov_b32_e32 v4, v13
	v_mov_b32_e32 v8, v14
	s_clause 0x1
	global_load_dword v10, v[0:1], off
	global_load_dword v14, v[15:16], off
	global_load_dword v13, v5, s[12:13]
	v_lshlrev_b64 v[0:1], 2, v[3:4]
	v_mov_b32_e32 v12, v9
	v_lshlrev_b64 v[2:3], 2, v[7:8]
	v_lshlrev_b32_e32 v15, 2, v22
	v_lshlrev_b32_e32 v7, 2, v21
	v_add_co_u32 v0, s0, v17, v0
	v_lshlrev_b64 v[4:5], 2, v[11:12]
	v_add_co_ci_u32_e64 v1, s0, v18, v1, s0
	v_add_co_u32 v2, s0, v17, v2
	v_add_co_ci_u32_e64 v3, s0, v18, v3, s0
	global_load_dword v8, v15, s[12:13]
	global_load_dword v9, v[0:1], off
	v_add_co_u32 v0, s0, v17, v4
	v_lshlrev_b32_e32 v11, 2, v20
	v_add_co_ci_u32_e64 v1, s0, v18, v5, s0
	v_lshlrev_b32_e32 v4, 2, v19
	global_load_dword v5, v7, s[12:13]
	global_load_dword v2, v[2:3], off
	global_load_dword v3, v11, s[12:13]
	global_load_dword v0, v[0:1], off
	global_load_dword v1, v4, s[12:13]
	s_waitcnt vmcnt(21)
	v_lshrrev_b32_e32 v4, 16, v33
	v_mul_f16_sdwa v7, v40, v33 dst_sel:DWORD dst_unused:UNUSED_PAD src0_sel:WORD_1 src1_sel:DWORD
	s_waitcnt vmcnt(20)
	v_lshrrev_b32_e32 v11, 16, v34
	v_mul_f16_sdwa v12, v41, v34 dst_sel:DWORD dst_unused:UNUSED_PAD src0_sel:WORD_1 src1_sel:DWORD
	;; [unrolled: 3-line block ×5, first 2 shown]
	v_fma_f16 v4, v40, v4, -v7
	v_mul_f16_sdwa v7, v41, v11 dst_sel:DWORD dst_unused:UNUSED_PAD src0_sel:WORD_1 src1_sel:DWORD
	v_fma_f16 v11, v41, v11, -v12
	v_mul_f16_sdwa v12, v42, v15 dst_sel:DWORD dst_unused:UNUSED_PAD src0_sel:WORD_1 src1_sel:DWORD
	;; [unrolled: 2-line block ×3, first 2 shown]
	v_fma_f16 v17, v43, v17, -v18
	v_fmac_f16_e32 v67, v40, v33
	s_waitcnt vmcnt(16)
	v_lshrrev_b32_e32 v51, 16, v39
	s_waitcnt vmcnt(15)
	v_mul_f16_sdwa v50, v38, v37 dst_sel:DWORD dst_unused:UNUSED_PAD src0_sel:WORD_1 src1_sel:DWORD
	v_fmac_f16_e32 v7, v41, v34
	s_waitcnt vmcnt(14)
	v_mul_f16_sdwa v52, v44, v39 dst_sel:DWORD dst_unused:UNUSED_PAD src0_sel:WORD_1 src1_sel:DWORD
	v_fmac_f16_e32 v12, v42, v35
	v_fmac_f16_e32 v16, v43, v36
	v_fma_f16 v18, v38, v49, -v50
	v_mul_f16_sdwa v49, v38, v49 dst_sel:DWORD dst_unused:UNUSED_PAD src0_sel:WORD_1 src1_sel:DWORD
	v_fma_f16 v50, v44, v51, -v52
	v_mul_f16_sdwa v51, v44, v51 dst_sel:DWORD dst_unused:UNUSED_PAD src0_sel:WORD_1 src1_sel:DWORD
	v_fmac_f16_e32 v49, v38, v37
	v_fmac_f16_e32 v51, v44, v39
	s_waitcnt vmcnt(13)
	v_lshrrev_b32_e32 v53, 16, v45
	s_waitcnt vmcnt(12)
	v_mul_f16_sdwa v54, v46, v45 dst_sel:DWORD dst_unused:UNUSED_PAD src0_sel:WORD_1 src1_sel:DWORD
	s_waitcnt vmcnt(11)
	v_lshrrev_b32_e32 v55, 16, v47
	s_waitcnt vmcnt(10)
	v_mul_f16_sdwa v56, v48, v47 dst_sel:DWORD dst_unused:UNUSED_PAD src0_sel:WORD_1 src1_sel:DWORD
	v_fma_f16 v52, v46, v53, -v54
	v_mul_f16_sdwa v53, v46, v53 dst_sel:DWORD dst_unused:UNUSED_PAD src0_sel:WORD_1 src1_sel:DWORD
	v_fma_f16 v54, v48, v55, -v56
	v_mul_f16_sdwa v55, v48, v55 dst_sel:DWORD dst_unused:UNUSED_PAD src0_sel:WORD_1 src1_sel:DWORD
	v_fmac_f16_e32 v53, v46, v45
	v_fmac_f16_e32 v55, v48, v47
	s_waitcnt vmcnt(9)
	v_lshrrev_b32_e32 v57, 16, v10
	s_waitcnt vmcnt(8)
	v_lshrrev_b32_e32 v59, 16, v14
	s_waitcnt vmcnt(7)
	v_mul_f16_sdwa v58, v13, v10 dst_sel:DWORD dst_unused:UNUSED_PAD src0_sel:WORD_1 src1_sel:DWORD
	v_fma_f16 v56, v13, v57, -v58
	v_mul_f16_sdwa v57, v13, v57 dst_sel:DWORD dst_unused:UNUSED_PAD src0_sel:WORD_1 src1_sel:DWORD
	v_fmac_f16_e32 v57, v13, v10
	s_waitcnt vmcnt(6)
	v_mul_f16_sdwa v60, v8, v14 dst_sel:DWORD dst_unused:UNUSED_PAD src0_sel:WORD_1 src1_sel:DWORD
	s_waitcnt vmcnt(5)
	v_lshrrev_b32_e32 v61, 16, v9
	s_waitcnt vmcnt(4)
	v_mul_f16_sdwa v62, v5, v9 dst_sel:DWORD dst_unused:UNUSED_PAD src0_sel:WORD_1 src1_sel:DWORD
	s_waitcnt vmcnt(3)
	v_lshrrev_b32_e32 v63, 16, v2
	;; [unrolled: 4-line block ×3, first 2 shown]
	s_waitcnt vmcnt(0)
	v_mul_f16_sdwa v66, v1, v0 dst_sel:DWORD dst_unused:UNUSED_PAD src0_sel:WORD_1 src1_sel:DWORD
	v_fma_f16 v58, v8, v59, -v60
	v_mul_f16_sdwa v59, v8, v59 dst_sel:DWORD dst_unused:UNUSED_PAD src0_sel:WORD_1 src1_sel:DWORD
	v_fma_f16 v60, v5, v61, -v62
	;; [unrolled: 2-line block ×4, first 2 shown]
	v_mul_f16_sdwa v65, v1, v65 dst_sel:DWORD dst_unused:UNUSED_PAD src0_sel:WORD_1 src1_sel:DWORD
	v_fmac_f16_e32 v59, v8, v14
	v_fmac_f16_e32 v61, v5, v9
	;; [unrolled: 1-line block ×3, first 2 shown]
	v_pack_b32_f16 v2, v12, v15
	v_fmac_f16_e32 v65, v1, v0
	v_pack_b32_f16 v0, v67, v4
	v_pack_b32_f16 v1, v7, v11
	;; [unrolled: 1-line block ×12, first 2 shown]
	ds_write2st64_b32 v23, v0, v1 offset1:2
	ds_write2st64_b32 v23, v2, v3 offset0:4 offset1:6
	ds_write2st64_b32 v23, v4, v5 offset0:8 offset1:10
	;; [unrolled: 1-line block ×5, first 2 shown]
	ds_write_b32 v23, v13 offset:6144
.LBB0_3:
	s_or_b32 exec_lo, exec_lo, s1
	s_clause 0x1
	s_load_dwordx2 s[0:1], s[4:5], 0x20
	s_load_dwordx2 s[2:3], s[4:5], 0x8
	v_mov_b32_e32 v11, 0
	s_waitcnt lgkmcnt(0)
	s_barrier
	buffer_gl0_inv
                                        ; implicit-def: $vgpr17
                                        ; implicit-def: $vgpr1
                                        ; implicit-def: $vgpr3
                                        ; implicit-def: $vgpr5
                                        ; implicit-def: $vgpr14
                                        ; implicit-def: $vgpr16
                                        ; kill: def $vgpr0 killed $sgpr0 killed $exec
	s_and_saveexec_b32 s4, vcc_lo
	s_cbranch_execz .LBB0_5
; %bb.4:
	ds_read2st64_b32 v[11:12], v23 offset1:2
	ds_read2st64_b32 v[15:16], v23 offset0:4 offset1:6
	ds_read2st64_b32 v[13:14], v23 offset0:8 offset1:10
	;; [unrolled: 1-line block ×5, first 2 shown]
	ds_read_b32 v17, v23 offset:6144
.LBB0_5:
	s_or_b32 exec_lo, exec_lo, s4
	s_waitcnt lgkmcnt(0)
	v_pk_add_f16 v33, v12, v17 neg_lo:[0,1] neg_hi:[0,1]
	v_mov_b32_e32 v7, 0xb770
	v_pk_add_f16 v18, v17, v12
	v_mov_b32_e32 v9, 0xbb7b
	v_mov_b32_e32 v10, 0xb94e
	v_mul_f16_e32 v50, 0xba95, v33
	v_mul_f16_sdwa v43, v33, v7 dst_sel:DWORD dst_unused:UNUSED_PAD src0_sel:WORD_1 src1_sel:DWORD
	v_lshrrev_b32_e32 v60, 16, v18
	v_mul_f16_sdwa v55, v33, v9 dst_sel:DWORD dst_unused:UNUSED_PAD src0_sel:WORD_1 src1_sel:DWORD
	v_pk_add_f16 v41, v15, v1 neg_lo:[0,1] neg_hi:[0,1]
	v_mov_b32_e32 v37, 0x394e
	v_fmamk_f16 v7, v18, 0x3b15, v43
	v_fma_f16 v8, v60, 0x388b, -v50
	v_mul_f16_sdwa v57, v33, v10 dst_sel:DWORD dst_unused:UNUSED_PAD src0_sel:WORD_1 src1_sel:DWORD
	v_pk_add_f16 v42, v1, v15
	v_mul_f16_sdwa v56, v41, v37 dst_sel:DWORD dst_unused:UNUSED_PAD src0_sel:WORD_1 src1_sel:DWORD
	v_add_f16_e32 v35, v7, v11
	v_fmamk_f16 v7, v18, 0xb5ac, v55
	v_mov_b32_e32 v37, 0x3bf1
	v_pk_add_f16 v44, v16, v0 neg_lo:[0,1] neg_hi:[0,1]
	v_mov_b32_e32 v39, 0x3770
	v_mov_b32_e32 v34, 0xbbf1
	v_add_f16_sdwa v36, v8, v11 dst_sel:DWORD dst_unused:UNUSED_PAD src0_sel:DWORD src1_sel:WORD_1
	v_fmamk_f16 v8, v18, 0xb9fd, v57
	v_add_f16_e32 v7, v7, v11
	v_mov_b32_e32 v40, 0xba95
	v_fmamk_f16 v45, v42, 0xb9fd, v56
	v_mul_f16_sdwa v61, v41, v37 dst_sel:DWORD dst_unused:UNUSED_PAD src0_sel:WORD_1 src1_sel:DWORD
	v_pk_add_f16 v47, v0, v16
	v_mul_f16_sdwa v58, v44, v39 dst_sel:DWORD dst_unused:UNUSED_PAD src0_sel:WORD_1 src1_sel:DWORD
	v_pk_add_f16 v46, v13, v3 neg_lo:[0,1] neg_hi:[0,1]
	v_add_f16_e32 v8, v8, v11
	v_add_f16_e32 v7, v45, v7
	v_fmamk_f16 v37, v42, 0x2fb7, v61
	v_fmamk_f16 v48, v47, 0x3b15, v58
	v_mul_f16_sdwa v62, v44, v40 dst_sel:DWORD dst_unused:UNUSED_PAD src0_sel:WORD_1 src1_sel:DWORD
	v_pk_add_f16 v45, v3, v13
	v_mul_f16_sdwa v59, v46, v34 dst_sel:DWORD dst_unused:UNUSED_PAD src0_sel:WORD_1 src1_sel:DWORD
	v_mov_b32_e32 v51, 0x33a8
	v_add_f16_e32 v8, v37, v8
	v_add_f16_e32 v7, v48, v7
	v_fmamk_f16 v37, v47, 0x388b, v62
	v_fmamk_f16 v48, v45, 0x2fb7, v59
	v_mul_f16_sdwa v65, v46, v51 dst_sel:DWORD dst_unused:UNUSED_PAD src0_sel:WORD_1 src1_sel:DWORD
	v_pk_add_f16 v49, v14, v2 neg_lo:[0,1] neg_hi:[0,1]
	v_mov_b32_e32 v66, 0x3a95
	v_add_f16_e32 v8, v37, v8
	v_add_f16_e32 v7, v48, v7
	v_fmamk_f16 v37, v45, 0xbbc4, v65
	v_pk_add_f16 v48, v2, v14
	v_mul_f16_sdwa v63, v49, v51 dst_sel:DWORD dst_unused:UNUSED_PAD src0_sel:WORD_1 src1_sel:DWORD
	v_mul_f16_sdwa v68, v49, v39 dst_sel:DWORD dst_unused:UNUSED_PAD src0_sel:WORD_1 src1_sel:DWORD
	v_pk_add_f16 v51, v4, v5 neg_lo:[0,1] neg_hi:[0,1]
	v_add_f16_e32 v8, v37, v8
	v_pk_add_f16 v54, v5, v4
	v_fmamk_f16 v37, v48, 0xbbc4, v63
	v_fmamk_f16 v69, v48, 0x3b15, v68
	v_mul_f16_sdwa v67, v51, v66 dst_sel:DWORD dst_unused:UNUSED_PAD src0_sel:WORD_1 src1_sel:DWORD
	v_mul_f16_sdwa v75, v51, v9 dst_sel:DWORD dst_unused:UNUSED_PAD src0_sel:WORD_1 src1_sel:DWORD
	;; [unrolled: 1-line block ×3, first 2 shown]
	v_add_f16_e32 v7, v37, v7
	v_add_f16_e32 v37, v69, v8
	v_fmamk_f16 v8, v54, 0x388b, v67
	v_fmamk_f16 v69, v54, 0xb5ac, v75
	v_mul_f16_e32 v74, 0xbbf1, v33
	v_fmamk_f16 v38, v18, 0x2fb7, v53
	v_mul_f16_sdwa v52, v41, v40 dst_sel:DWORD dst_unused:UNUSED_PAD src0_sel:WORD_1 src1_sel:DWORD
	v_mov_b32_e32 v79, 0xb3a8
	v_lshrrev_b32_e32 v102, 16, v42
	v_mul_f16_e32 v66, 0xbb7b, v41
	v_add_f16_e32 v8, v8, v7
	v_add_f16_e32 v7, v69, v37
	v_fma_f16 v69, v60, 0x2fb7, -v74
	v_mul_f16_e32 v76, 0xb3a8, v41
	v_fmamk_f16 v64, v42, 0x388b, v52
	v_mul_f16_sdwa v70, v41, v79 dst_sel:DWORD dst_unused:UNUSED_PAD src0_sel:WORD_1 src1_sel:DWORD
	v_add_f16_e32 v37, v38, v11
	v_fma_f16 v38, v102, 0xb5ac, -v66
	v_mul_f16_e32 v89, 0xbb7b, v33
	v_add_f16_sdwa v69, v69, v11 dst_sel:DWORD dst_unused:UNUSED_PAD src0_sel:DWORD src1_sel:WORD_1
	v_fma_f16 v71, v102, 0xbbc4, -v76
	v_mul_f16_e32 v105, 0xb94e, v33
	v_add_f16_e32 v35, v64, v35
	v_fmamk_f16 v64, v42, 0xbbc4, v70
	v_add_f16_e32 v36, v38, v36
	v_fma_f16 v38, v60, 0xb5ac, -v89
	v_add_f16_e32 v71, v71, v69
	v_mul_f16_e32 v91, 0x394e, v41
	v_fma_f16 v69, v60, 0xb9fd, -v105
	v_mul_f16_e32 v106, 0x3bf1, v41
	v_mov_b32_e32 v72, 0x3b7b
	v_add_f16_e32 v37, v64, v37
	v_add_f16_sdwa v38, v38, v11 dst_sel:DWORD dst_unused:UNUSED_PAD src0_sel:DWORD src1_sel:WORD_1
	v_mul_f16_sdwa v64, v44, v34 dst_sel:DWORD dst_unused:UNUSED_PAD src0_sel:WORD_1 src1_sel:DWORD
	v_fma_f16 v34, v102, 0xb9fd, -v91
	v_add_f16_sdwa v69, v69, v11 dst_sel:DWORD dst_unused:UNUSED_PAD src0_sel:DWORD src1_sel:WORD_1
	v_fma_f16 v78, v102, 0x2fb7, -v106
	v_lshrrev_b32_e32 v107, 16, v47
	v_mul_f16_e32 v73, 0xb3a8, v44
	v_mul_f16_sdwa v77, v44, v72 dst_sel:DWORD dst_unused:UNUSED_PAD src0_sel:WORD_1 src1_sel:DWORD
	v_add_f16_e32 v34, v34, v38
	v_add_f16_e32 v38, v78, v69
	v_mul_f16_e32 v85, 0x3b7b, v44
	v_fma_f16 v69, v107, 0xbbc4, -v73
	v_fmamk_f16 v72, v47, 0xb5ac, v77
	v_fmamk_f16 v80, v47, 0x2fb7, v64
	v_mul_f16_e32 v98, 0x3770, v44
	v_mul_f16_e32 v110, 0xba95, v44
	v_add_f16_e32 v36, v69, v36
	v_add_f16_e32 v37, v72, v37
	v_fma_f16 v78, v107, 0xb5ac, -v85
	v_mul_f16_sdwa v69, v46, v9 dst_sel:DWORD dst_unused:UNUSED_PAD src0_sel:WORD_1 src1_sel:DWORD
	v_lshrrev_b32_e32 v108, 16, v45
	v_mul_f16_e32 v72, 0x394e, v46
	v_mul_f16_sdwa v84, v46, v39 dst_sel:DWORD dst_unused:UNUSED_PAD src0_sel:WORD_1 src1_sel:DWORD
	v_add_f16_e32 v35, v80, v35
	v_fma_f16 v80, v107, 0x3b15, -v98
	v_fma_f16 v81, v107, 0x388b, -v110
	v_add_f16_e32 v9, v78, v71
	v_fmamk_f16 v71, v45, 0xb5ac, v69
	v_fma_f16 v78, v108, 0xb9fd, -v72
	v_mul_f16_e32 v87, 0x3770, v46
	v_mul_f16_e32 v103, 0xbbf1, v46
	v_fmamk_f16 v39, v45, 0x3b15, v84
	v_mul_f16_e32 v112, 0x33a8, v46
	v_add_f16_e32 v34, v80, v34
	v_add_f16_e32 v38, v81, v38
	;; [unrolled: 1-line block ×4, first 2 shown]
	v_fma_f16 v78, v108, 0x3b15, -v87
	v_fma_f16 v80, v108, 0x2fb7, -v103
	v_mul_f16_sdwa v71, v49, v10 dst_sel:DWORD dst_unused:UNUSED_PAD src0_sel:WORD_1 src1_sel:DWORD
	v_add_f16_e32 v37, v39, v37
	v_fma_f16 v39, v108, 0xbbc4, -v112
	v_add_f16_e32 v9, v78, v9
	v_add_f16_e32 v34, v80, v34
	v_fmamk_f16 v80, v48, 0xb9fd, v71
	v_lshrrev_b32_e32 v111, 16, v48
	v_mul_f16_e32 v78, 0x3bf1, v49
	v_add_f16_e32 v38, v39, v38
	v_mul_f16_sdwa v88, v49, v40 dst_sel:DWORD dst_unused:UNUSED_PAD src0_sel:WORD_1 src1_sel:DWORD
	v_pk_mul_f16 v39, 0x3b15388b, v18
	v_mul_f16_sdwa v79, v51, v79 dst_sel:DWORD dst_unused:UNUSED_PAD src0_sel:WORD_1 src1_sel:DWORD
	v_add_f16_e32 v35, v80, v35
	v_fma_f16 v40, v111, 0x2fb7, -v78
	v_mul_f16_e32 v100, 0xba95, v49
	v_fmamk_f16 v80, v48, 0x388b, v88
	v_pk_mul_f16 v90, 0x388bb5ac, v42
	v_pk_fma_f16 v81, 0xba95b770, v33, v39 op_sel:[0,0,1] op_sel_hi:[1,1,0]
	v_fmamk_f16 v95, v54, 0xbbc4, v79
	v_add_f16_e32 v36, v40, v36
	v_fma_f16 v40, v111, 0x388b, -v100
	v_add_f16_e32 v37, v80, v37
	v_pk_fma_f16 v83, 0xbb7bba95, v41, v90 op_sel:[0,0,1] op_sel_hi:[1,1,0]
	v_add_f16_sdwa v80, v81, v11 dst_sel:DWORD dst_unused:UNUSED_PAD src0_sel:WORD_1 src1_sel:DWORD
	v_pk_mul_f16 v93, 0x2fb7bbc4, v47
	v_add_f16_e32 v35, v95, v35
	v_pk_fma_f16 v95, 0xba95b770, v33, v39 op_sel:[0,0,1] op_sel_hi:[1,1,0] neg_lo:[0,1,0] neg_hi:[0,1,0]
	v_add_f16_e32 v40, v40, v9
	v_mul_f16_e32 v109, 0x33a8, v49
	v_mul_f16_e32 v114, 0x3770, v49
	v_add_f16_sdwa v9, v83, v80 dst_sel:DWORD dst_unused:UNUSED_PAD src0_sel:WORD_1 src1_sel:DWORD
	v_pk_fma_f16 v80, 0xb3a8bbf1, v44, v93 op_sel:[0,0,1] op_sel_hi:[1,1,0]
	v_pk_mul_f16 v94, 0xb5acb9fd, v45
	v_pk_fma_f16 v99, 0xbb7bba95, v41, v90 op_sel:[0,0,1] op_sel_hi:[1,1,0] neg_lo:[0,1,0] neg_hi:[0,1,0]
	v_add_f16_sdwa v39, v95, v11 dst_sel:DWORD dst_unused:UNUSED_PAD src0_sel:DWORD src1_sel:WORD_1
	v_fma_f16 v86, v111, 0xbbc4, -v109
	v_fma_f16 v92, v111, 0x3b15, -v114
	v_add_f16_sdwa v9, v80, v9 dst_sel:DWORD dst_unused:UNUSED_PAD src0_sel:WORD_1 src1_sel:DWORD
	v_pk_fma_f16 v82, 0x394ebb7b, v46, v94 op_sel:[0,0,1] op_sel_hi:[1,1,0]
	v_pk_mul_f16 v96, 0xb9fd2fb7, v48
	v_pk_fma_f16 v93, 0xb3a8bbf1, v44, v93 op_sel:[0,0,1] op_sel_hi:[1,1,0] neg_lo:[0,1,0] neg_hi:[0,1,0]
	v_add_f16_e32 v39, v99, v39
	v_add_f16_e32 v34, v86, v34
	;; [unrolled: 1-line block ×3, first 2 shown]
	v_add_f16_sdwa v9, v82, v9 dst_sel:DWORD dst_unused:UNUSED_PAD src0_sel:WORD_1 src1_sel:DWORD
	v_pk_fma_f16 v86, 0x3bf1b94e, v49, v96 op_sel:[0,0,1] op_sel_hi:[1,1,0]
	v_mul_f16_sdwa v92, v51, v10 dst_sel:DWORD dst_unused:UNUSED_PAD src0_sel:WORD_1 src1_sel:DWORD
	v_pk_fma_f16 v94, 0x394ebb7b, v46, v94 op_sel:[0,0,1] op_sel_hi:[1,1,0] neg_lo:[0,1,0] neg_hi:[0,1,0]
	v_add_f16_e32 v39, v93, v39
	v_pk_mul_f16 v38, 0xbbc43b15, v54
	v_add_f16_sdwa v10, v86, v9 dst_sel:DWORD dst_unused:UNUSED_PAD src0_sel:WORD_1 src1_sel:DWORD
	v_fmamk_f16 v9, v54, 0xb9fd, v92
	v_lshrrev_b32_e32 v115, 16, v54
	v_mul_f16_e32 v101, 0x3770, v51
	v_mul_f16_e32 v104, 0xb94e, v51
	;; [unrolled: 1-line block ×4, first 2 shown]
	v_pk_fma_f16 v96, 0x3bf1b94e, v49, v96 op_sel:[0,0,1] op_sel_hi:[1,1,0] neg_lo:[0,1,0] neg_hi:[0,1,0]
	v_add_f16_e32 v39, v94, v39
	v_pk_fma_f16 v90, 0x3770b3a8, v51, v38 op_sel:[0,0,1] op_sel_hi:[1,1,0]
	v_add_f16_e32 v9, v9, v37
	v_fma_f16 v37, v115, 0x3b15, -v101
	v_fma_f16 v118, v115, 0xb9fd, -v104
	;; [unrolled: 1-line block ×4, first 2 shown]
	v_pk_fma_f16 v97, 0x3770b3a8, v51, v38 op_sel:[0,0,1] op_sel_hi:[1,1,0] neg_lo:[0,1,0] neg_hi:[0,1,0]
	v_add_f16_e32 v121, v96, v39
	v_add_f16_sdwa v10, v90, v10 dst_sel:DWORD dst_unused:UNUSED_PAD src0_sel:WORD_1 src1_sel:DWORD
	v_add_f16_e32 v36, v37, v36
	v_add_f16_e32 v38, v118, v40
	;; [unrolled: 1-line block ×5, first 2 shown]
	v_mul_lo_u16 v34, v29, 13
	s_barrier
	buffer_gl0_inv
	s_and_saveexec_b32 s4, vcc_lo
	s_cbranch_execz .LBB0_7
; %bb.6:
	v_mul_f16_e32 v119, 0x388b, v60
	v_mul_f16_e32 v121, 0x2fb7, v60
	;; [unrolled: 1-line block ×8, first 2 shown]
	v_add_f16_e32 v60, v105, v60
	v_mul_f16_e32 v102, 0x2fb7, v102
	v_mul_f16_e32 v105, 0x2fb7, v42
	v_sub_f16_e32 v57, v124, v57
	v_mul_f16_e32 v122, 0xb5ac, v18
	v_add_f16_sdwa v60, v60, v11 dst_sel:DWORD dst_unused:UNUSED_PAD src0_sel:DWORD src1_sel:WORD_1
	v_add_f16_e32 v102, v106, v102
	v_mul_f16_e32 v106, 0x388b, v107
	v_add_f16_e32 v57, v57, v11
	v_sub_f16_e32 v61, v105, v61
	v_mul_f16_e32 v124, 0xbbc4, v45
	v_add_f16_e32 v60, v102, v60
	v_add_f16_e32 v102, v110, v106
	v_mul_f16_e32 v110, 0x388b, v47
	v_add_f16_e32 v57, v61, v57
	v_mul_f16_e32 v129, 0xb9fd, v42
	v_mul_f16_e32 v106, 0xbbc4, v108
	v_add_f16_e32 v89, v89, v123
	v_sub_f16_e32 v62, v110, v62
	v_mul_f16_e32 v123, 0x3b15, v48
	v_sub_f16_e32 v65, v124, v65
	v_sub_f16_e32 v55, v122, v55
	v_mul_f16_e32 v135, 0x3b15, v47
	v_add_f16_e32 v57, v62, v57
	v_add_f16_e32 v60, v102, v60
	;; [unrolled: 1-line block ×3, first 2 shown]
	v_mul_f16_e32 v122, 0xb5ac, v54
	v_add_f16_e32 v55, v55, v11
	v_add_f16_e32 v57, v65, v57
	v_sub_f16_e32 v65, v123, v68
	v_sub_f16_e32 v56, v129, v56
	v_alignbit_b32 v117, v11, v11, 16
	v_mul_f16_e32 v112, 0x3b15, v111
	v_add_f16_e32 v60, v102, v60
	v_mul_f16_e32 v102, 0x2fb7, v45
	v_add_f16_e32 v57, v65, v57
	v_sub_f16_e32 v65, v122, v75
	v_add_f16_e32 v55, v56, v55
	v_sub_f16_e32 v56, v135, v58
	v_add_f16_e32 v74, v74, v121
	v_mul_f16_e32 v120, 0x2fb7, v18
	v_mul_f16_e32 v134, 0xb5ac, v107
	v_add_f16_e32 v112, v114, v112
	v_mul_f16_e32 v114, 0xb5ac, v115
	v_mul_f16_e32 v61, 0xbbc4, v48
	v_add_f16_e32 v57, v65, v57
	v_add_f16_e32 v55, v56, v55
	v_sub_f16_e32 v56, v102, v59
	v_add_f16_sdwa v59, v74, v11 dst_sel:DWORD dst_unused:UNUSED_PAD src0_sel:DWORD src1_sel:WORD_1
	v_add_f16_e32 v65, v76, v128
	v_pk_add_f16 v12, v12, v117 op_sel:[0,1] op_sel_hi:[1,0]
	v_mul_f16_e32 v127, 0xbbc4, v42
	v_mul_f16_e32 v138, 0x3b15, v108
	v_add_f16_e32 v60, v112, v60
	v_add_f16_e32 v114, v116, v114
	;; [unrolled: 1-line block ×3, first 2 shown]
	v_sub_f16_e32 v56, v61, v63
	v_sub_f16_e32 v53, v120, v53
	v_add_f16_e32 v59, v65, v59
	v_add_f16_e32 v61, v85, v134
	v_pk_add_f16 v12, v15, v12
	v_mul_f16_e32 v118, 0x3b15, v18
	v_mul_f16_e32 v133, 0xb5ac, v47
	v_add_f16_e32 v60, v114, v60
	v_mul_f16_e32 v114, 0x388b, v111
	v_add_f16_e32 v55, v56, v55
	v_add_f16_e32 v53, v53, v11
	v_sub_f16_e32 v56, v127, v70
	v_add_f16_e32 v59, v61, v59
	v_add_f16_e32 v61, v87, v138
	;; [unrolled: 1-line block ×3, first 2 shown]
	v_pk_add_f16 v12, v16, v12
	v_mul_f16_e32 v125, 0x388b, v42
	v_mul_f16_e32 v132, 0xbbc4, v107
	;; [unrolled: 1-line block ×3, first 2 shown]
	v_add_f16_e32 v53, v56, v53
	v_sub_f16_e32 v56, v133, v77
	v_add_f16_e32 v59, v61, v59
	v_add_f16_e32 v61, v100, v114
	v_add_f16_sdwa v50, v50, v11 dst_sel:DWORD dst_unused:UNUSED_PAD src0_sel:DWORD src1_sel:WORD_1
	v_add_f16_e32 v65, v66, v126
	v_sub_f16_e32 v15, v118, v43
	v_pk_add_f16 v12, v13, v12
	v_mul_f16_e32 v131, 0x2fb7, v47
	v_mul_f16_e32 v106, 0xb9fd, v108
	;; [unrolled: 1-line block ×3, first 2 shown]
	v_add_f16_sdwa v89, v89, v11 dst_sel:DWORD dst_unused:UNUSED_PAD src0_sel:DWORD src1_sel:WORD_1
	v_add_f16_e32 v53, v56, v53
	v_sub_f16_e32 v56, v137, v84
	v_add_f16_e32 v59, v61, v59
	v_add_f16_e32 v50, v65, v50
	;; [unrolled: 1-line block ×4, first 2 shown]
	v_sub_f16_e32 v15, v125, v52
	v_pk_add_f16 v12, v14, v12
	v_bfi_b32 v14, 0xffff, v81, v95
	v_mul_f16_e32 v136, 0xb5ac, v45
	v_mul_f16_e32 v105, 0x2fb7, v111
	v_add_f16_e32 v53, v56, v53
	v_sub_f16_e32 v56, v116, v88
	v_add_f16_e32 v50, v61, v50
	v_add_f16_e32 v61, v72, v106
	;; [unrolled: 1-line block ×3, first 2 shown]
	v_sub_f16_e32 v15, v131, v64
	v_bfi_b32 v52, 0xffff, v83, v99
	v_pk_add_f16 v4, v4, v12
	v_pk_add_f16 v12, v14, v117
	v_add_f16_e32 v91, v91, v130
	v_mul_f16_e32 v130, 0x3b15, v115
	v_add_f16_e32 v53, v56, v53
	v_add_f16_e32 v50, v61, v50
	v_add_f16_e32 v56, v78, v105
	v_add_f16_e32 v11, v15, v11
	v_sub_f16_e32 v15, v136, v69
	v_bfi_b32 v14, 0xffff, v80, v93
	v_pk_add_f16 v4, v5, v4
	v_pk_add_f16 v5, v52, v12
	v_mul_f16_e32 v112, 0xb9fd, v48
	v_add_f16_e32 v13, v56, v50
	v_add_f16_e32 v50, v101, v130
	;; [unrolled: 1-line block ×3, first 2 shown]
	v_bfi_b32 v15, 0xffff, v82, v94
	v_pk_add_f16 v2, v2, v4
	v_pk_add_f16 v4, v14, v5
	v_add_f16_e32 v13, v50, v13
	v_sub_f16_e32 v12, v112, v71
	v_bfi_b32 v50, 0xffff, v86, v96
	v_pk_add_f16 v2, v3, v2
	v_pk_add_f16 v3, v15, v4
	v_pk_mul_f16 v4, 0xb3a8, v33 op_sel_hi:[0,1]
	v_mul_f16_e32 v110, 0xbbc4, v54
	v_add_f16_e32 v5, v12, v11
	v_bfi_b32 v12, 0xffff, v90, v97
	v_pk_add_f16 v0, v0, v2
	v_pk_add_f16 v2, v50, v3
	v_pk_fma_f16 v3, 0xbbc4, v18, v4 op_sel:[0,0,1] op_sel_hi:[0,1,0] neg_lo:[0,0,1] neg_hi:[0,0,1]
	v_pk_fma_f16 v4, 0xbbc4, v18, v4 op_sel:[0,0,1] op_sel_hi:[0,1,0]
	v_pk_mul_f16 v14, 0x3770, v41 op_sel_hi:[0,1]
	v_sub_f16_e32 v11, v110, v79
	v_pk_add_f16 v0, v1, v0
	v_pk_add_f16 v1, v12, v2
	v_bfi_b32 v2, 0xffff, v3, v4
	v_pk_fma_f16 v12, 0x3b15, v42, v14 op_sel:[0,0,1] op_sel_hi:[0,1,0] neg_lo:[0,0,1] neg_hi:[0,0,1]
	v_pk_fma_f16 v14, 0x3b15, v42, v14 op_sel:[0,0,1] op_sel_hi:[0,1,0]
	v_pk_mul_f16 v15, 0xb94e, v44 op_sel_hi:[0,1]
	v_mul_f16_e32 v107, 0x3b15, v107
	v_add_f16_e32 v5, v11, v5
	v_pk_add_f16 v0, v17, v0
	v_pk_add_f16 v2, v2, v117 op_sel:[0,1] op_sel_hi:[1,0]
	v_bfi_b32 v17, 0xffff, v12, v14
	v_pk_fma_f16 v18, 0xb9fd, v47, v15 op_sel:[0,0,1] op_sel_hi:[0,1,0] neg_lo:[0,0,1] neg_hi:[0,0,1]
	v_pk_fma_f16 v15, 0xb9fd, v47, v15 op_sel:[0,0,1] op_sel_hi:[0,1,0]
	v_bfi_b32 v3, 0xffff, v4, v3
	v_mul_f16_e32 v108, 0x2fb7, v108
	v_add_f16_e32 v89, v91, v89
	v_add_f16_e32 v98, v98, v107
	v_pk_mul_f16 v4, 0x3a95, v46 op_sel_hi:[0,1]
	v_alignbit_b32 v13, v13, v1, 16
	v_pack_b32_f16 v1, v5, v1
	v_pk_add_f16 v2, v17, v2
	v_bfi_b32 v5, 0xffff, v18, v15
	v_pk_add_f16 v3, v3, v117 op_sel:[0,1] op_sel_hi:[1,0]
	v_bfi_b32 v12, 0xffff, v14, v12
	v_mul_f16_e32 v111, 0xbbc4, v111
	v_mul_f16_e32 v91, 0x388b, v54
	v_add_f16_e32 v68, v98, v89
	v_add_f16_e32 v89, v103, v108
	v_pk_fma_f16 v14, 0x388b, v45, v4 op_sel:[0,0,1] op_sel_hi:[0,1,0] neg_lo:[0,0,1] neg_hi:[0,0,1]
	v_pk_fma_f16 v4, 0x388b, v45, v4 op_sel:[0,0,1] op_sel_hi:[0,1,0]
	v_pk_mul_f16 v17, 0xbb7b, v49 op_sel_hi:[0,1]
	v_pk_add_f16 v2, v5, v2
	v_pk_add_f16 v3, v12, v3
	v_bfi_b32 v5, 0xffff, v15, v18
	v_mul_f16_e32 v62, 0xb9fd, v54
	v_mul_f16_e32 v124, 0xb9fd, v115
	;; [unrolled: 1-line block ×3, first 2 shown]
	v_add_f16_e32 v58, v89, v68
	v_add_f16_e32 v68, v109, v111
	v_sub_f16_e32 v63, v91, v67
	v_mov_b32_e32 v11, 2
	v_bfi_b32 v12, 0xffff, v14, v4
	v_pk_fma_f16 v15, 0xb5ac, v48, v17 op_sel:[0,0,1] op_sel_hi:[0,1,0] neg_lo:[0,0,1] neg_hi:[0,0,1]
	v_pk_fma_f16 v17, 0xb5ac, v48, v17 op_sel:[0,0,1] op_sel_hi:[0,1,0]
	v_pk_mul_f16 v18, 0x3bf1, v51 op_sel_hi:[0,1]
	v_pk_add_f16 v3, v5, v3
	v_bfi_b32 v4, 0xffff, v4, v14
	v_add_f16_e32 v58, v68, v58
	v_add_f16_e32 v68, v113, v115
	;; [unrolled: 1-line block ×4, first 2 shown]
	v_sub_f16_e32 v43, v62, v92
	v_lshlrev_b32_sdwa v11, v11, v34 dst_sel:DWORD dst_unused:UNUSED_PAD src0_sel:DWORD src1_sel:WORD_0
	v_pk_add_f16 v2, v12, v2
	v_bfi_b32 v5, 0xffff, v15, v17
	v_pk_fma_f16 v12, 0x2fb7, v54, v18 op_sel:[0,0,1] op_sel_hi:[0,1,0] neg_lo:[0,0,1] neg_hi:[0,0,1]
	v_pk_fma_f16 v14, 0x2fb7, v54, v18 op_sel:[0,0,1] op_sel_hi:[0,1,0]
	v_pk_add_f16 v3, v4, v3
	v_bfi_b32 v4, 0xffff, v17, v15
	v_add_f16_e32 v58, v68, v58
	v_add_f16_e32 v16, v63, v59
	;; [unrolled: 1-line block ×3, first 2 shown]
	ds_write_b32 v11, v0
	ds_write2_b32 v11, v1, v13 offset0:1 offset1:2
	v_pk_add_f16 v0, v5, v2
	v_bfi_b32 v1, 0xffff, v12, v14
	v_pk_add_f16 v2, v4, v3
	v_bfi_b32 v3, 0xffff, v14, v12
	v_pack_b32_f16 v4, v55, v58
	v_pack_b32_f16 v5, v43, v16
	v_pk_add_f16 v0, v1, v0
	v_pack_b32_f16 v1, v57, v60
	v_pk_add_f16 v2, v3, v2
	v_perm_b32 v3, v40, v7, 0x5040100
	v_perm_b32 v12, v38, v9, 0x5040100
	;; [unrolled: 1-line block ×5, first 2 shown]
	ds_write2_b32 v11, v5, v4 offset0:3 offset1:4
	ds_write2_b32 v11, v1, v0 offset0:5 offset1:6
	;; [unrolled: 1-line block ×5, first 2 shown]
.LBB0_7:
	s_or_b32 exec_lo, exec_lo, s4
	v_and_b32_e32 v0, 0xff, v29
	v_add_co_u32 v17, null, 0xd0, v29
	v_add_nc_u32_e32 v13, 0x1a0, v29
	v_add_nc_u32_e32 v12, 0x270, v29
	v_mul_lo_u16 v16, 0x4f, v0
	v_mov_b32_e32 v0, 0x4ec5
	v_mov_b32_e32 v11, 2
	s_load_dwordx4 s[16:19], s[0:1], 0x0
	s_waitcnt lgkmcnt(0)
	v_lshrrev_b16 v18, 10, v16
	v_mul_u32_u24_sdwa v53, v17, v0 dst_sel:DWORD dst_unused:UNUSED_PAD src0_sel:WORD_0 src1_sel:DWORD
	v_mul_u32_u24_sdwa v58, v13, v0 dst_sel:DWORD dst_unused:UNUSED_PAD src0_sel:WORD_0 src1_sel:DWORD
	;; [unrolled: 1-line block ×3, first 2 shown]
	s_barrier
	v_mul_lo_u16 v1, v18, 13
	v_lshrrev_b32_e32 v45, 18, v53
	v_lshrrev_b32_e32 v46, 18, v58
	;; [unrolled: 1-line block ×3, first 2 shown]
	buffer_gl0_inv
	v_sub_nc_u16 v0, v29, v1
	v_mul_lo_u16 v1, v45, 13
	v_mul_lo_u16 v2, v46, 13
	v_lshlrev_b32_sdwa v33, v11, v29 dst_sel:DWORD dst_unused:UNUSED_PAD src0_sel:DWORD src1_sel:WORD_0
	v_lshrrev_b16 v54, 11, v16
	v_and_b32_e32 v48, 0xff, v0
	v_mul_lo_u16 v0, v47, 13
	v_sub_nc_u16 v49, v17, v1
	v_sub_nc_u16 v50, v13, v2
	v_add_nc_u32_e32 v72, 0xd00, v33
	v_lshlrev_b32_e32 v1, 2, v48
	v_sub_nc_u16 v51, v12, v0
	v_lshlrev_b32_sdwa v0, v11, v49 dst_sel:DWORD dst_unused:UNUSED_PAD src0_sel:DWORD src1_sel:WORD_0
	v_lshlrev_b32_sdwa v2, v11, v50 dst_sel:DWORD dst_unused:UNUSED_PAD src0_sel:DWORD src1_sel:WORD_0
	v_add_nc_u32_e32 v71, 0x600, v33
	global_load_dword v41, v1, s[2:3]
	v_lshlrev_b32_sdwa v1, v11, v51 dst_sel:DWORD dst_unused:UNUSED_PAD src0_sel:DWORD src1_sel:WORD_0
	v_add_nc_u32_e32 v73, 0x1300, v33
	s_clause 0x2
	global_load_dword v42, v0, s[2:3]
	global_load_dword v43, v2, s[2:3]
	;; [unrolled: 1-line block ×3, first 2 shown]
	ds_read2_b32 v[0:1], v33 offset1:208
	ds_read2_b32 v[2:3], v72 offset1:208
	ds_read2_b32 v[4:5], v71 offset0:32 offset1:240
	ds_read2_b32 v[14:15], v73 offset0:32 offset1:240
	v_mad_u16 v49, v45, 26, v49
	v_mad_u16 v50, v46, 26, v50
	v_mov_b32_e32 v52, 26
	v_lshrrev_b32_e32 v55, 19, v53
	v_lshrrev_b32_e32 v56, 19, v58
	;; [unrolled: 1-line block ×3, first 2 shown]
	v_mul_lo_u16 v60, v54, 26
	v_lshlrev_b32_sdwa v46, v11, v49 dst_sel:DWORD dst_unused:UNUSED_PAD src0_sel:DWORD src1_sel:WORD_0
	v_mad_u16 v51, v47, 26, v51
	v_lshlrev_b32_sdwa v47, v11, v50 dst_sel:DWORD dst_unused:UNUSED_PAD src0_sel:DWORD src1_sel:WORD_0
	v_mul_lo_u16 v61, v55, 26
	v_mul_lo_u16 v62, v56, 26
	;; [unrolled: 1-line block ×3, first 2 shown]
	v_mul_u32_u24_sdwa v18, v18, v52 dst_sel:DWORD dst_unused:UNUSED_PAD src0_sel:WORD_0 src1_sel:DWORD
	v_sub_nc_u16 v52, v29, v60
	v_sub_nc_u16 v60, v17, v61
	;; [unrolled: 1-line block ×3, first 2 shown]
	s_waitcnt lgkmcnt(2)
	v_lshrrev_b32_e32 v49, 16, v2
	v_lshrrev_b32_e32 v50, 16, v3
	s_waitcnt lgkmcnt(0)
	v_lshrrev_b32_e32 v67, 16, v14
	v_lshrrev_b32_e32 v69, 16, v15
	v_sub_nc_u16 v62, v12, v63
	v_and_b32_e32 v63, 0xff, v52
	v_lshrrev_b32_e32 v52, 16, v0
	v_lshrrev_b32_e32 v66, 16, v1
	v_add_lshl_u32 v45, v18, v48, 2
	v_lshlrev_b32_sdwa v48, v11, v51 dst_sel:DWORD dst_unused:UNUSED_PAD src0_sel:DWORD src1_sel:WORD_0
	v_lshrrev_b32_e32 v51, 16, v4
	v_lshrrev_b32_e32 v68, 16, v5
	v_lshlrev_b32_e32 v18, 2, v63
	v_lshlrev_b32_sdwa v64, v11, v60 dst_sel:DWORD dst_unused:UNUSED_PAD src0_sel:DWORD src1_sel:WORD_0
	v_lshlrev_b32_sdwa v65, v11, v61 dst_sel:DWORD dst_unused:UNUSED_PAD src0_sel:DWORD src1_sel:WORD_0
	s_waitcnt vmcnt(0)
	s_barrier
	buffer_gl0_inv
	v_lshrrev_b32_e32 v53, 20, v53
	v_mad_u16 v57, v57, 52, v62
	v_mad_u16 v56, v56, 52, v61
	v_lshrrev_b32_e32 v58, 22, v58
	v_lshrrev_b32_e32 v59, 22, v59
	v_lshlrev_b32_sdwa v57, v11, v57 dst_sel:DWORD dst_unused:UNUSED_PAD src0_sel:DWORD src1_sel:WORD_0
	v_lshlrev_b32_sdwa v56, v11, v56 dst_sel:DWORD dst_unused:UNUSED_PAD src0_sel:DWORD src1_sel:WORD_0
	v_mul_lo_u16 v58, 0xd0, v58
	v_mul_lo_u16 v59, 0xd0, v59
	v_sub_nc_u16 v13, v13, v58
	v_sub_nc_u16 v12, v12, v59
	v_mul_f16_sdwa v70, v49, v41 dst_sel:DWORD dst_unused:UNUSED_PAD src0_sel:DWORD src1_sel:WORD_1
	v_mul_f16_sdwa v74, v2, v41 dst_sel:DWORD dst_unused:UNUSED_PAD src0_sel:DWORD src1_sel:WORD_1
	;; [unrolled: 1-line block ×8, first 2 shown]
	v_fma_f16 v2, v2, v41, -v70
	v_fmac_f16_e32 v74, v49, v41
	v_fma_f16 v3, v3, v42, -v75
	v_fmac_f16_e32 v76, v50, v42
	;; [unrolled: 2-line block ×4, first 2 shown]
	v_sub_f16_e32 v2, v0, v2
	v_sub_f16_e32 v49, v52, v74
	;; [unrolled: 1-line block ×8, first 2 shown]
	v_fma_f16 v0, v0, 2.0, -v2
	v_fma_f16 v52, v52, 2.0, -v49
	;; [unrolled: 1-line block ×8, first 2 shown]
	v_pack_b32_f16 v2, v2, v49
	v_pack_b32_f16 v0, v0, v52
	;; [unrolled: 1-line block ×8, first 2 shown]
	ds_write2_b32 v45, v0, v2 offset1:13
	ds_write2_b32 v46, v1, v3 offset1:13
	;; [unrolled: 1-line block ×4, first 2 shown]
	s_waitcnt lgkmcnt(0)
	s_barrier
	buffer_gl0_inv
	global_load_dword v52, v18, s[2:3] offset:52
	v_lshlrev_b32_sdwa v0, v11, v62 dst_sel:DWORD dst_unused:UNUSED_PAD src0_sel:DWORD src1_sel:WORD_0
	s_clause 0x2
	global_load_dword v51, v64, s[2:3] offset:52
	global_load_dword v50, v65, s[2:3] offset:52
	;; [unrolled: 1-line block ×3, first 2 shown]
	v_lshrrev_b16 v18, 12, v16
	v_mov_b32_e32 v0, 52
	v_mul_lo_u16 v5, v53, 52
	v_mul_lo_u16 v4, v18, 52
	v_mul_u32_u24_sdwa v16, v54, v0 dst_sel:DWORD dst_unused:UNUSED_PAD src0_sel:WORD_0 src1_sel:DWORD
	ds_read2_b32 v[0:1], v33 offset1:208
	ds_read2_b32 v[2:3], v72 offset1:208
	v_sub_nc_u16 v65, v17, v5
	v_mad_u16 v17, v55, 52, v60
	v_sub_nc_u16 v54, v29, v4
	ds_read2_b32 v[4:5], v71 offset0:32 offset1:240
	ds_read2_b32 v[14:15], v73 offset0:32 offset1:240
	s_waitcnt vmcnt(0) lgkmcnt(0)
	v_mul_lo_u16 v61, v65, 12
	v_lshlrev_b32_sdwa v55, v11, v17 dst_sel:DWORD dst_unused:UNUSED_PAD src0_sel:DWORD src1_sel:WORD_0
	v_and_b32_e32 v60, 0xff, v54
	v_add_lshl_u32 v54, v16, v63, 2
	s_barrier
	v_and_b32_e32 v61, 0xffff, v61
	buffer_gl0_inv
	v_mad_u64_u32 v[16:17], null, v60, 12, s[2:3]
	v_mad_u16 v58, 0xd0, v53, v65
	v_lshlrev_b32_sdwa v53, v11, v13 dst_sel:DWORD dst_unused:UNUSED_PAD src0_sel:DWORD src1_sel:WORD_0
	v_lshlrev_b32_e32 v65, 2, v29
	v_lshrrev_b32_e32 v62, 16, v0
	v_lshrrev_b32_e32 v63, 16, v2
	;; [unrolled: 1-line block ×8, first 2 shown]
	v_lshlrev_b32_sdwa v59, v11, v58 dst_sel:DWORD dst_unused:UNUSED_PAD src0_sel:DWORD src1_sel:WORD_0
	v_mul_f16_sdwa v74, v63, v52 dst_sel:DWORD dst_unused:UNUSED_PAD src0_sel:DWORD src1_sel:WORD_1
	v_mul_f16_sdwa v75, v2, v52 dst_sel:DWORD dst_unused:UNUSED_PAD src0_sel:DWORD src1_sel:WORD_1
	v_mul_f16_sdwa v76, v66, v51 dst_sel:DWORD dst_unused:UNUSED_PAD src0_sel:DWORD src1_sel:WORD_1
	v_mul_f16_sdwa v77, v3, v51 dst_sel:DWORD dst_unused:UNUSED_PAD src0_sel:DWORD src1_sel:WORD_1
	v_mul_f16_sdwa v78, v68, v50 dst_sel:DWORD dst_unused:UNUSED_PAD src0_sel:DWORD src1_sel:WORD_1
	v_mul_f16_sdwa v79, v14, v50 dst_sel:DWORD dst_unused:UNUSED_PAD src0_sel:DWORD src1_sel:WORD_1
	v_mul_f16_sdwa v80, v70, v49 dst_sel:DWORD dst_unused:UNUSED_PAD src0_sel:DWORD src1_sel:WORD_1
	v_mul_f16_sdwa v81, v15, v49 dst_sel:DWORD dst_unused:UNUSED_PAD src0_sel:DWORD src1_sel:WORD_1
	v_fma_f16 v2, v2, v52, -v74
	v_fmac_f16_e32 v75, v63, v52
	v_fma_f16 v3, v3, v51, -v76
	v_fmac_f16_e32 v77, v66, v51
	v_fma_f16 v14, v14, v50, -v78
	v_fmac_f16_e32 v79, v68, v50
	v_fma_f16 v15, v15, v49, -v80
	v_fmac_f16_e32 v81, v70, v49
	v_sub_f16_e32 v2, v0, v2
	v_sub_f16_e32 v63, v62, v75
	;; [unrolled: 1-line block ×8, first 2 shown]
	v_fma_f16 v0, v0, 2.0, -v2
	v_fma_f16 v62, v62, 2.0, -v63
	;; [unrolled: 1-line block ×8, first 2 shown]
	v_pack_b32_f16 v2, v2, v63
	v_pack_b32_f16 v0, v0, v62
	;; [unrolled: 1-line block ×8, first 2 shown]
	ds_write2_b32 v54, v0, v2 offset1:26
	ds_write2_b32 v55, v1, v3 offset1:26
	;; [unrolled: 1-line block ×4, first 2 shown]
	v_add_co_u32 v0, s0, s2, v61
	v_add_co_ci_u32_e64 v1, null, s3, 0, s0
	s_waitcnt lgkmcnt(0)
	s_barrier
	buffer_gl0_inv
	s_clause 0x1
	global_load_dwordx3 v[3:5], v[16:17], off offset:156
	global_load_dwordx3 v[0:2], v[0:1], off offset:156
	ds_read2_b32 v[14:15], v33 offset1:208
	ds_read2_b32 v[16:17], v71 offset0:32 offset1:240
	ds_read2_b32 v[61:62], v72 offset1:208
	ds_read2_b32 v[63:64], v73 offset0:32 offset1:240
	v_mov_b32_e32 v66, 0xd0
	s_waitcnt vmcnt(0) lgkmcnt(0)
	s_barrier
	buffer_gl0_inv
	v_mul_u32_u24_sdwa v18, v18, v66 dst_sel:DWORD dst_unused:UNUSED_PAD src0_sel:WORD_0 src1_sel:DWORD
	v_add_lshl_u32 v60, v18, v60, 2
	v_lshrrev_b32_e32 v13, 16, v14
	v_lshrrev_b32_e32 v18, 16, v16
	;; [unrolled: 1-line block ×8, first 2 shown]
	v_mul_f16_sdwa v74, v18, v3 dst_sel:DWORD dst_unused:UNUSED_PAD src0_sel:DWORD src1_sel:WORD_1
	v_mul_f16_sdwa v75, v16, v3 dst_sel:DWORD dst_unused:UNUSED_PAD src0_sel:DWORD src1_sel:WORD_1
	;; [unrolled: 1-line block ×12, first 2 shown]
	v_fma_f16 v16, v16, v3, -v74
	v_fmac_f16_e32 v75, v18, v3
	v_fma_f16 v18, v61, v4, -v76
	v_fmac_f16_e32 v77, v58, v4
	v_fma_f16 v58, v63, v5, -v78
	v_fmac_f16_e32 v79, v66, v5
	v_fma_f16 v17, v17, v0, -v80
	v_fmac_f16_e32 v81, v68, v0
	v_fma_f16 v61, v62, v1, -v82
	v_fmac_f16_e32 v83, v69, v1
	v_fma_f16 v62, v64, v2, -v84
	v_fmac_f16_e32 v85, v70, v2
	v_sub_f16_e32 v18, v14, v18
	v_sub_f16_e32 v63, v13, v77
	;; [unrolled: 1-line block ×8, first 2 shown]
	v_fma_f16 v14, v14, 2.0, -v18
	v_fma_f16 v13, v13, 2.0, -v63
	;; [unrolled: 1-line block ×8, first 2 shown]
	v_sub_f16_e32 v64, v18, v64
	v_add_f16_e32 v58, v63, v58
	v_sub_f16_e32 v16, v14, v16
	v_sub_f16_e32 v69, v13, v69
	;; [unrolled: 1-line block ×3, first 2 shown]
	v_add_f16_e32 v62, v66, v62
	v_sub_f16_e32 v17, v15, v17
	v_sub_f16_e32 v70, v67, v70
	v_fma_f16 v18, v18, 2.0, -v64
	v_fma_f16 v63, v63, 2.0, -v58
	;; [unrolled: 1-line block ×6, first 2 shown]
	v_pack_b32_f16 v58, v64, v58
	v_fma_f16 v15, v15, 2.0, -v17
	v_fma_f16 v64, v67, 2.0, -v70
	v_pack_b32_f16 v16, v16, v69
	v_pack_b32_f16 v18, v18, v63
	v_pack_b32_f16 v13, v14, v13
	v_pack_b32_f16 v61, v61, v66
	v_pack_b32_f16 v14, v15, v64
	v_pack_b32_f16 v62, v68, v62
	v_pack_b32_f16 v15, v17, v70
	ds_write2_b32 v60, v16, v58 offset0:104 offset1:156
	ds_write2_b32 v60, v13, v18 offset1:52
	ds_write2_b32 v59, v14, v61 offset1:52
	ds_write2_b32 v59, v15, v62 offset0:104 offset1:156
	v_lshlrev_b32_sdwa v58, v11, v12 dst_sel:DWORD dst_unused:UNUSED_PAD src0_sel:DWORD src1_sel:WORD_0
	s_waitcnt lgkmcnt(0)
	s_barrier
	buffer_gl0_inv
	s_clause 0x2
	global_load_dword v63, v65, s[2:3] offset:780
	global_load_dword v62, v53, s[2:3] offset:780
	;; [unrolled: 1-line block ×3, first 2 shown]
	ds_read2_b32 v[11:12], v33 offset1:208
	ds_read2_b32 v[13:14], v72 offset1:208
	ds_read2_b32 v[15:16], v71 offset0:32 offset1:240
	ds_read2_b32 v[17:18], v73 offset0:32 offset1:240
	v_add_co_u32 v68, s0, s2, v65
	v_add_co_ci_u32_e64 v69, null, s3, 0, s0
	v_add_nc_u32_e32 v64, 0xd00, v53
	v_add_co_u32 v66, s0, 0x800, v68
	v_add_co_ci_u32_e64 v67, s0, 0, v69, s0
	v_add_nc_u32_e32 v70, 0x1300, v58
	s_waitcnt vmcnt(0) lgkmcnt(0)
	s_barrier
	buffer_gl0_inv
	v_lshrrev_b32_e32 v74, 16, v11
	v_lshrrev_b32_e32 v75, 16, v13
	;; [unrolled: 1-line block ×8, first 2 shown]
	v_mul_f16_sdwa v82, v75, v63 dst_sel:DWORD dst_unused:UNUSED_PAD src0_sel:DWORD src1_sel:WORD_1
	v_mul_f16_sdwa v83, v13, v63 dst_sel:DWORD dst_unused:UNUSED_PAD src0_sel:DWORD src1_sel:WORD_1
	;; [unrolled: 1-line block ×8, first 2 shown]
	v_fma_f16 v13, v13, v63, -v82
	v_fmac_f16_e32 v83, v75, v63
	v_fma_f16 v14, v14, v63, -v84
	v_fmac_f16_e32 v85, v77, v63
	v_fma_f16 v17, v17, v62, -v86
	v_fmac_f16_e32 v87, v79, v62
	v_fma_f16 v18, v18, v61, -v88
	v_fmac_f16_e32 v89, v81, v61
	v_sub_f16_e32 v13, v11, v13
	v_sub_f16_e32 v75, v74, v83
	;; [unrolled: 1-line block ×8, first 2 shown]
	v_fma_f16 v11, v11, 2.0, -v13
	v_fma_f16 v74, v74, 2.0, -v75
	;; [unrolled: 1-line block ×8, first 2 shown]
	v_pack_b32_f16 v13, v13, v75
	v_pack_b32_f16 v11, v11, v74
	;; [unrolled: 1-line block ×8, first 2 shown]
	ds_write2_b32 v33, v11, v13 offset1:208
	ds_write2_b32 v71, v12, v14 offset0:32 offset1:240
	ds_write2_b32 v64, v15, v17 offset1:208
	ds_write2_b32 v70, v16, v18 offset0:32 offset1:240
	s_waitcnt lgkmcnt(0)
	s_barrier
	buffer_gl0_inv
	s_clause 0x1
	global_load_dword v65, v65, s[2:3] offset:1612
	global_load_dword v64, v[66:67], off offset:396
	ds_read2_b32 v[11:12], v33 offset1:208
	ds_read2_b32 v[13:14], v72 offset1:208
	ds_read2_b32 v[15:16], v71 offset0:32 offset1:240
	ds_read2_b32 v[17:18], v73 offset0:32 offset1:240
	v_add_co_u32 v74, s0, 0x1000, v68
	v_add_co_ci_u32_e64 v75, s0, 0, v69, s0
	s_waitcnt vmcnt(0) lgkmcnt(0)
	s_barrier
	buffer_gl0_inv
	v_lshrrev_b32_e32 v68, 16, v11
	v_lshrrev_b32_e32 v69, 16, v13
	;; [unrolled: 1-line block ×8, first 2 shown]
	v_mul_f16_sdwa v81, v69, v65 dst_sel:DWORD dst_unused:UNUSED_PAD src0_sel:DWORD src1_sel:WORD_1
	v_mul_f16_sdwa v82, v13, v65 dst_sel:DWORD dst_unused:UNUSED_PAD src0_sel:DWORD src1_sel:WORD_1
	;; [unrolled: 1-line block ×8, first 2 shown]
	v_fma_f16 v13, v13, v65, -v81
	v_fmac_f16_e32 v82, v69, v65
	v_fma_f16 v14, v14, v64, -v83
	v_fmac_f16_e32 v84, v76, v64
	v_fma_f16 v17, v17, v65, -v85
	v_fmac_f16_e32 v86, v78, v65
	v_fma_f16 v18, v18, v64, -v87
	v_fmac_f16_e32 v88, v80, v64
	v_sub_f16_e32 v13, v11, v13
	v_sub_f16_e32 v69, v68, v82
	;; [unrolled: 1-line block ×8, first 2 shown]
	v_fma_f16 v11, v11, 2.0, -v13
	v_fma_f16 v68, v68, 2.0, -v69
	;; [unrolled: 1-line block ×8, first 2 shown]
	v_pack_b32_f16 v13, v13, v69
	v_pack_b32_f16 v14, v14, v76
	;; [unrolled: 1-line block ×8, first 2 shown]
	ds_write2_b32 v71, v13, v14 offset0:32 offset1:240
	ds_write2_b32 v73, v17, v18 offset0:32 offset1:240
	ds_write2_b32 v33, v11, v12 offset1:208
	ds_write2_b32 v72, v15, v16 offset1:208
	s_waitcnt lgkmcnt(0)
	s_barrier
	buffer_gl0_inv
	s_clause 0x3
	global_load_dword v68, v[66:67], off offset:1228
	global_load_dword v67, v[74:75], off offset:12
	;; [unrolled: 1-line block ×4, first 2 shown]
	ds_read2_b32 v[79:80], v33 offset1:208
	ds_read2_b32 v[11:12], v72 offset1:208
	ds_read2_b32 v[81:82], v71 offset0:32 offset1:240
	ds_read2_b32 v[13:14], v73 offset0:32 offset1:240
	s_waitcnt lgkmcnt(3)
	v_lshrrev_b32_e32 v15, 16, v79
	s_waitcnt lgkmcnt(2)
	v_lshrrev_b32_e32 v16, 16, v11
	v_lshrrev_b32_e32 v18, 16, v12
	s_waitcnt lgkmcnt(0)
	v_lshrrev_b32_e32 v70, 16, v13
	v_lshrrev_b32_e32 v74, 16, v14
	;; [unrolled: 1-line block ×5, first 2 shown]
	s_waitcnt vmcnt(3)
	v_mul_f16_sdwa v75, v16, v68 dst_sel:DWORD dst_unused:UNUSED_PAD src0_sel:DWORD src1_sel:WORD_1
	v_mul_f16_sdwa v76, v11, v68 dst_sel:DWORD dst_unused:UNUSED_PAD src0_sel:DWORD src1_sel:WORD_1
	s_waitcnt vmcnt(2)
	v_mul_f16_sdwa v78, v18, v67 dst_sel:DWORD dst_unused:UNUSED_PAD src0_sel:DWORD src1_sel:WORD_1
	v_mul_f16_sdwa v84, v12, v67 dst_sel:DWORD dst_unused:UNUSED_PAD src0_sel:DWORD src1_sel:WORD_1
	;; [unrolled: 3-line block ×4, first 2 shown]
	v_fma_f16 v11, v11, v68, -v75
	v_fmac_f16_e32 v76, v16, v68
	v_fma_f16 v16, v12, v67, -v78
	v_fmac_f16_e32 v84, v18, v67
	;; [unrolled: 2-line block ×4, first 2 shown]
	v_sub_f16_e32 v12, v79, v11
	v_sub_f16_e32 v78, v15, v76
	;; [unrolled: 1-line block ×8, first 2 shown]
	v_fma_f16 v11, v79, 2.0, -v12
	v_fma_f16 v70, v15, 2.0, -v78
	;; [unrolled: 1-line block ×8, first 2 shown]
	v_pack_b32_f16 v81, v12, v78
	v_pack_b32_f16 v82, v14, v76
	;; [unrolled: 1-line block ×8, first 2 shown]
	ds_write2_b32 v72, v81, v82 offset1:208
	ds_write2_b32 v73, v83, v84 offset0:32 offset1:240
	ds_write2_b32 v33, v85, v86 offset1:208
	ds_write2_b32 v71, v87, v88 offset0:32 offset1:240
	s_waitcnt lgkmcnt(0)
	s_barrier
	buffer_gl0_inv
	s_and_saveexec_b32 s2, vcc_lo
	s_cbranch_execz .LBB0_9
; %bb.8:
	s_add_u32 s0, s12, 0x1a00
	s_addc_u32 s1, s13, 0
	v_or_b32_e32 v72, 0x800, v23
	s_clause 0x1
	global_load_dword v71, v23, s[0:1]
	global_load_dword v73, v23, s[0:1] offset:512
	v_or_b32_e32 v81, 0xa00, v23
	v_or_b32_e32 v82, 0xc00, v23
	s_clause 0x4
	global_load_dword v91, v23, s[0:1] offset:1024
	global_load_dword v92, v23, s[0:1] offset:1536
	global_load_dword v93, v72, s[0:1]
	global_load_dword v94, v81, s[0:1]
	global_load_dword v95, v82, s[0:1]
	v_or_b32_e32 v72, 0xe00, v23
	v_or_b32_e32 v81, 0x1000, v23
	;; [unrolled: 1-line block ×3, first 2 shown]
	s_clause 0x2
	global_load_dword v96, v72, s[0:1]
	global_load_dword v97, v81, s[0:1]
	;; [unrolled: 1-line block ×3, first 2 shown]
	v_or_b32_e32 v72, 0x1400, v23
	v_or_b32_e32 v81, 0x1600, v23
	v_or_b32_e32 v82, 0x1800, v23
	s_clause 0x2
	global_load_dword v99, v72, s[0:1]
	global_load_dword v100, v81, s[0:1]
	;; [unrolled: 1-line block ×3, first 2 shown]
	ds_read_b32 v72, v33
	s_waitcnt lgkmcnt(0)
	v_lshrrev_b32_e32 v81, 16, v72
	s_waitcnt vmcnt(12)
	v_mul_f16_sdwa v82, v81, v71 dst_sel:DWORD dst_unused:UNUSED_PAD src0_sel:DWORD src1_sel:WORD_1
	v_mul_f16_sdwa v83, v72, v71 dst_sel:DWORD dst_unused:UNUSED_PAD src0_sel:DWORD src1_sel:WORD_1
	v_fma_f16 v72, v72, v71, -v82
	v_fmac_f16_e32 v83, v81, v71
	v_pack_b32_f16 v71, v72, v83
	ds_write_b32 v33, v71
	ds_read2st64_b32 v[71:72], v23 offset0:2 offset1:4
	ds_read2st64_b32 v[81:82], v23 offset0:6 offset1:8
	;; [unrolled: 1-line block ×6, first 2 shown]
	s_waitcnt lgkmcnt(5)
	v_lshrrev_b32_e32 v102, 16, v71
	s_waitcnt vmcnt(11)
	v_mul_f16_sdwa v103, v71, v73 dst_sel:DWORD dst_unused:UNUSED_PAD src0_sel:DWORD src1_sel:WORD_1
	v_lshrrev_b32_e32 v104, 16, v72
	s_waitcnt vmcnt(10)
	v_mul_f16_sdwa v105, v72, v91 dst_sel:DWORD dst_unused:UNUSED_PAD src0_sel:DWORD src1_sel:WORD_1
	s_waitcnt lgkmcnt(4)
	v_lshrrev_b32_e32 v106, 16, v81
	s_waitcnt vmcnt(9)
	v_mul_f16_sdwa v107, v81, v92 dst_sel:DWORD dst_unused:UNUSED_PAD src0_sel:DWORD src1_sel:WORD_1
	v_lshrrev_b32_e32 v108, 16, v82
	s_waitcnt vmcnt(8)
	v_mul_f16_sdwa v109, v82, v93 dst_sel:DWORD dst_unused:UNUSED_PAD src0_sel:DWORD src1_sel:WORD_1
	;; [unrolled: 7-line block ×5, first 2 shown]
	s_waitcnt lgkmcnt(0)
	v_lshrrev_b32_e32 v122, 16, v89
	s_waitcnt vmcnt(1)
	v_mul_f16_sdwa v123, v89, v100 dst_sel:DWORD dst_unused:UNUSED_PAD src0_sel:DWORD src1_sel:WORD_1
	v_lshrrev_b32_e32 v124, 16, v90
	v_mul_f16_sdwa v126, v102, v73 dst_sel:DWORD dst_unused:UNUSED_PAD src0_sel:DWORD src1_sel:WORD_1
	v_fmac_f16_e32 v103, v102, v73
	v_mul_f16_sdwa v102, v104, v91 dst_sel:DWORD dst_unused:UNUSED_PAD src0_sel:DWORD src1_sel:WORD_1
	v_fmac_f16_e32 v105, v104, v91
	v_mul_f16_sdwa v104, v106, v92 dst_sel:DWORD dst_unused:UNUSED_PAD src0_sel:DWORD src1_sel:WORD_1
	v_fmac_f16_e32 v107, v106, v92
	v_mul_f16_sdwa v106, v108, v93 dst_sel:DWORD dst_unused:UNUSED_PAD src0_sel:DWORD src1_sel:WORD_1
	v_fmac_f16_e32 v109, v108, v93
	v_mul_f16_sdwa v108, v110, v94 dst_sel:DWORD dst_unused:UNUSED_PAD src0_sel:DWORD src1_sel:WORD_1
	v_fmac_f16_e32 v111, v110, v94
	v_mul_f16_sdwa v110, v112, v95 dst_sel:DWORD dst_unused:UNUSED_PAD src0_sel:DWORD src1_sel:WORD_1
	v_fmac_f16_e32 v113, v112, v95
	v_mul_f16_sdwa v112, v114, v96 dst_sel:DWORD dst_unused:UNUSED_PAD src0_sel:DWORD src1_sel:WORD_1
	v_fmac_f16_e32 v115, v114, v96
	v_mul_f16_sdwa v114, v116, v97 dst_sel:DWORD dst_unused:UNUSED_PAD src0_sel:DWORD src1_sel:WORD_1
	v_fmac_f16_e32 v117, v116, v97
	v_mul_f16_sdwa v116, v118, v98 dst_sel:DWORD dst_unused:UNUSED_PAD src0_sel:DWORD src1_sel:WORD_1
	v_fmac_f16_e32 v119, v118, v98
	v_mul_f16_sdwa v118, v120, v99 dst_sel:DWORD dst_unused:UNUSED_PAD src0_sel:DWORD src1_sel:WORD_1
	s_waitcnt vmcnt(0)
	v_mul_f16_sdwa v125, v90, v101 dst_sel:DWORD dst_unused:UNUSED_PAD src0_sel:DWORD src1_sel:WORD_1
	v_fmac_f16_e32 v121, v120, v99
	v_mul_f16_sdwa v120, v122, v100 dst_sel:DWORD dst_unused:UNUSED_PAD src0_sel:DWORD src1_sel:WORD_1
	v_fmac_f16_e32 v123, v122, v100
	v_mul_f16_sdwa v122, v124, v101 dst_sel:DWORD dst_unused:UNUSED_PAD src0_sel:DWORD src1_sel:WORD_1
	v_fma_f16 v71, v71, v73, -v126
	v_fma_f16 v72, v72, v91, -v102
	;; [unrolled: 1-line block ×10, first 2 shown]
	v_fmac_f16_e32 v125, v124, v101
	v_fma_f16 v88, v89, v100, -v120
	v_fma_f16 v89, v90, v101, -v122
	v_pack_b32_f16 v71, v71, v103
	v_pack_b32_f16 v72, v72, v105
	;; [unrolled: 1-line block ×12, first 2 shown]
	ds_write2st64_b32 v23, v71, v72 offset0:2 offset1:4
	ds_write2st64_b32 v23, v73, v81 offset0:6 offset1:8
	ds_write2st64_b32 v23, v82, v83 offset0:10 offset1:12
	ds_write2st64_b32 v23, v84, v85 offset0:14 offset1:16
	ds_write2st64_b32 v23, v86, v87 offset0:18 offset1:20
	ds_write2st64_b32 v23, v88, v89 offset0:22 offset1:24
.LBB0_9:
	s_or_b32 exec_lo, exec_lo, s2
	s_waitcnt lgkmcnt(0)
	s_barrier
	buffer_gl0_inv
	s_and_saveexec_b32 s0, vcc_lo
	s_cbranch_execz .LBB0_11
; %bb.10:
	ds_read2st64_b32 v[11:12], v33 offset1:2
	ds_read2st64_b32 v[13:14], v33 offset0:4 offset1:6
	ds_read2st64_b32 v[15:16], v33 offset0:8 offset1:10
	;; [unrolled: 1-line block ×5, first 2 shown]
	ds_read_b32 v35, v33 offset:6144
	s_waitcnt lgkmcnt(6)
	v_lshrrev_b32_e32 v70, 16, v11
	v_lshrrev_b32_e32 v78, 16, v12
	s_waitcnt lgkmcnt(5)
	v_lshrrev_b32_e32 v80, 16, v13
	v_lshrrev_b32_e32 v76, 16, v14
	;; [unrolled: 3-line block ×6, first 2 shown]
	s_waitcnt lgkmcnt(0)
	v_lshrrev_b32_e32 v37, 16, v35
.LBB0_11:
	s_or_b32 exec_lo, exec_lo, s0
	s_barrier
	buffer_gl0_inv
	s_and_saveexec_b32 s0, vcc_lo
	s_cbranch_execz .LBB0_13
; %bb.12:
	v_sub_f16_e32 v82, v12, v35
	v_add_f16_e32 v95, v37, v78
	v_sub_f16_e32 v73, v13, v10
	v_add_f16_e32 v96, v36, v80
	v_sub_f16_e32 v71, v14, v9
	v_mul_f16_e32 v86, 0xb3a8, v82
	v_add_f16_e32 v97, v38, v76
	v_mul_f16_e32 v90, 0x3770, v73
	v_sub_f16_e32 v72, v15, v8
	v_mul_f16_e32 v91, 0xb94e, v71
	v_fmamk_f16 v83, v95, 0xbbc4, v86
	v_add_f16_e32 v98, v39, v79
	v_fmamk_f16 v85, v96, 0x3b15, v90
	v_mul_f16_e32 v92, 0x3a95, v72
	v_fmamk_f16 v87, v97, 0xb9fd, v91
	v_add_f16_e32 v83, v70, v83
	v_sub_f16_e32 v81, v16, v7
	v_sub_f16_e32 v100, v78, v37
	v_fmamk_f16 v88, v98, 0x388b, v92
	v_add_f16_e32 v99, v40, v75
	v_add_f16_e32 v83, v85, v83
	;; [unrolled: 1-line block ×3, first 2 shown]
	v_sub_f16_e32 v101, v80, v36
	v_mul_f16_e32 v93, 0xbb7b, v81
	v_mul_f16_e32 v94, 0xb3a8, v100
	v_add_f16_e32 v83, v87, v83
	v_add_f16_e32 v85, v10, v13
	v_mul_f16_e32 v102, 0x3770, v101
	v_fmamk_f16 v87, v99, 0xb5ac, v93
	v_fma_f16 v89, v84, 0xbbc4, -v94
	v_add_f16_e32 v88, v88, v83
	v_sub_f16_e32 v83, v17, v18
	v_sub_f16_e32 v103, v76, v38
	v_add_f16_e32 v109, v74, v77
	v_fma_f16 v104, v85, 0x3b15, -v102
	v_add_f16_e32 v89, v11, v89
	v_mul_f16_e32 v107, 0x3bf1, v83
	v_add_f16_e32 v105, v87, v88
	v_add_f16_e32 v87, v9, v14
	v_mul_f16_e32 v106, 0xb94e, v103
	v_sub_f16_e32 v108, v79, v39
	v_fmamk_f16 v111, v109, 0x2fb7, v107
	v_fma_f16 v113, v95, 0xbbc4, -v86
	v_add_f16_e32 v89, v104, v89
	v_fma_f16 v104, v87, 0xb9fd, -v106
	v_add_f16_e32 v88, v8, v15
	v_mul_f16_e32 v110, 0x3a95, v108
	v_sub_f16_e32 v112, v75, v40
	v_add_f16_e32 v86, v111, v105
	v_add_f16_e32 v105, v70, v113
	v_fma_f16 v90, v96, 0x3b15, -v90
	v_add_f16_e32 v104, v104, v89
	v_fma_f16 v114, v88, 0x388b, -v110
	v_add_f16_e32 v89, v7, v16
	v_mul_f16_e32 v115, 0xbb7b, v112
	v_sub_f16_e32 v113, v77, v74
	v_fmac_f16_e32 v94, 0xbbc4, v84
	v_add_f16_e32 v105, v90, v105
	v_fma_f16 v91, v97, 0xb9fd, -v91
	v_add_f16_e32 v104, v114, v104
	v_fma_f16 v111, v89, 0xb5ac, -v115
	v_add_f16_e32 v90, v18, v17
	v_mul_f16_e32 v114, 0x3bf1, v113
	v_add_f16_e32 v94, v11, v94
	v_fmac_f16_e32 v102, 0x3b15, v85
	v_add_f16_e32 v91, v91, v105
	v_fma_f16 v92, v98, 0x388b, -v92
	v_add_f16_e32 v104, v111, v104
	v_fma_f16 v105, v90, 0x2fb7, -v114
	;; [unrolled: 2-line block ×3, first 2 shown]
	v_add_f16_e32 v92, v92, v91
	v_mul_f16_e32 v102, 0xb9fd, v95
	v_fmac_f16_e32 v106, 0xb9fd, v87
	v_add_f16_e32 v91, v105, v104
	v_mul_f16_e32 v104, 0x2fb7, v96
	v_add_f16_e32 v92, v93, v92
	v_fmamk_f16 v93, v82, 0x394e, v102
	v_add_f16_e32 v94, v106, v94
	v_fmac_f16_e32 v110, 0x388b, v88
	v_fma_f16 v105, v109, 0x2fb7, -v107
	v_fmamk_f16 v106, v73, 0xbbf1, v104
	v_add_f16_e32 v93, v70, v93
	v_mul_f16_e32 v107, 0x388b, v97
	v_add_f16_e32 v94, v110, v94
	v_fmac_f16_e32 v115, 0xb5ac, v89
	v_add_f16_e32 v92, v105, v92
	v_mul_f16_e32 v105, 0xb94e, v100
	v_add_f16_e32 v93, v106, v93
	v_fmamk_f16 v106, v71, 0x3a95, v107
	v_mul_f16_e32 v110, 0xbbc4, v98
	v_add_f16_e32 v94, v115, v94
	v_fmamk_f16 v111, v84, 0xb9fd, v105
	v_mul_f16_e32 v115, 0x3bf1, v101
	v_add_f16_e32 v93, v106, v93
	v_fmamk_f16 v106, v72, 0xb3a8, v110
	v_mul_f16_e32 v116, 0x3b15, v99
	v_fmac_f16_e32 v114, 0x2fb7, v90
	v_add_f16_e32 v111, v11, v111
	v_fmamk_f16 v117, v85, 0x2fb7, v115
	v_mul_f16_e32 v118, 0xba95, v103
	v_add_f16_e32 v106, v106, v93
	v_fmamk_f16 v119, v81, 0xb770, v116
	v_add_f16_e32 v93, v114, v94
	v_add_f16_e32 v94, v117, v111
	v_fmamk_f16 v111, v87, 0x388b, v118
	v_mul_f16_e32 v114, 0x33a8, v108
	v_add_f16_e32 v106, v119, v106
	v_mul_f16_e32 v117, 0xb5ac, v109
	v_mul_f16_e32 v119, 0xb5ac, v95
	v_add_f16_e32 v94, v111, v94
	v_fmamk_f16 v111, v88, 0xbbc4, v114
	v_mul_f16_e32 v123, 0xb9fd, v96
	v_fmamk_f16 v121, v83, 0x3b7b, v117
	v_fmamk_f16 v122, v82, 0x3b7b, v119
	v_mul_f16_e32 v120, 0x3770, v112
	v_add_f16_e32 v111, v111, v94
	v_mul_f16_e32 v125, 0xbb7b, v100
	v_add_f16_e32 v94, v121, v106
	v_add_f16_e32 v106, v70, v122
	v_fmamk_f16 v121, v73, 0xb94e, v123
	v_mul_f16_e32 v122, 0x3b15, v97
	v_fmamk_f16 v124, v89, 0x3b15, v120
	v_mul_f16_e32 v126, 0x2fb7, v98
	v_fmamk_f16 v128, v84, 0xb5ac, v125
	v_add_f16_e32 v106, v121, v106
	v_fmamk_f16 v121, v71, 0xb770, v122
	v_add_f16_e32 v111, v124, v111
	v_mul_f16_e32 v124, 0xbb7b, v113
	v_mul_f16_e32 v129, 0x394e, v101
	;; [unrolled: 1-line block ×3, first 2 shown]
	v_add_f16_e32 v106, v121, v106
	v_fmamk_f16 v121, v72, 0x3bf1, v126
	v_fmamk_f16 v127, v90, 0xb5ac, v124
	v_add_f16_e32 v128, v11, v128
	v_fmamk_f16 v131, v85, 0xb9fd, v129
	v_mul_f16_e32 v132, 0x3770, v103
	v_add_f16_e32 v106, v121, v106
	v_fmamk_f16 v121, v81, 0xb3a8, v130
	v_add_f16_e32 v111, v127, v111
	v_add_f16_e32 v127, v131, v128
	v_fmamk_f16 v128, v87, 0x3b15, v132
	v_mul_f16_e32 v131, 0xbbf1, v108
	v_add_f16_e32 v106, v121, v106
	v_mul_f16_e32 v121, 0x388b, v109
	v_mul_f16_e32 v133, 0x2fb7, v95
	v_add_f16_e32 v127, v128, v127
	v_fmamk_f16 v128, v88, 0x2fb7, v131
	v_mul_f16_e32 v134, 0x33a8, v112
	v_fmamk_f16 v135, v83, 0xba95, v121
	v_fmamk_f16 v136, v82, 0x3bf1, v133
	v_mul_f16_e32 v137, 0xbbc4, v96
	v_add_f16_e32 v127, v128, v127
	v_fmamk_f16 v128, v89, 0xbbc4, v134
	v_add_f16_e32 v106, v135, v106
	v_add_f16_e32 v135, v70, v136
	v_fmamk_f16 v136, v73, 0x33a8, v137
	v_mul_f16_e32 v138, 0xb5ac, v97
	v_mul_f16_e32 v139, 0xbbf1, v100
	v_add_f16_e32 v127, v128, v127
	v_mul_f16_e32 v128, 0x3a95, v113
	v_add_f16_e32 v135, v136, v135
	v_fmamk_f16 v136, v71, 0xbb7b, v138
	v_mul_f16_e32 v140, 0x3b15, v98
	v_fmamk_f16 v142, v84, 0x2fb7, v139
	v_mul_f16_e32 v143, 0xb3a8, v101
	v_fmamk_f16 v141, v90, 0x388b, v128
	v_add_f16_e32 v135, v136, v135
	v_fmamk_f16 v136, v72, 0xb770, v140
	v_mul_f16_e32 v144, 0x388b, v99
	v_add_f16_e32 v142, v11, v142
	v_fmamk_f16 v145, v85, 0xbbc4, v143
	v_mul_f16_e32 v146, 0x3b7b, v103
	v_add_f16_e32 v135, v136, v135
	v_fmamk_f16 v136, v81, 0x3a95, v144
	v_add_f16_e32 v127, v141, v127
	v_add_f16_e32 v141, v145, v142
	v_fmamk_f16 v142, v87, 0xb5ac, v146
	v_mul_f16_e32 v145, 0x3770, v108
	v_add_f16_e32 v135, v136, v135
	v_mul_f16_e32 v136, 0x388b, v95
	v_mul_f16_e32 v148, 0xba95, v112
	v_add_f16_e32 v141, v142, v141
	v_fmamk_f16 v142, v88, 0x3b15, v145
	v_mul_f16_e32 v147, 0xb9fd, v109
	v_fmamk_f16 v149, v82, 0x3a95, v136
	v_mul_f16_e32 v150, 0xb5ac, v96
	v_mul_f16_e32 v153, 0xbbc4, v97
	v_add_f16_e32 v141, v142, v141
	v_fmamk_f16 v142, v89, 0x388b, v148
	v_fmamk_f16 v151, v83, 0x394e, v147
	v_add_f16_e32 v149, v70, v149
	v_fmamk_f16 v152, v73, 0x3b7b, v150
	v_mul_f16_e32 v156, 0xbb7b, v101
	v_add_f16_e32 v141, v142, v141
	v_mul_f16_e32 v142, 0xba95, v100
	v_add_f16_e32 v135, v151, v135
	v_add_f16_e32 v149, v152, v149
	v_fmamk_f16 v151, v71, 0x33a8, v153
	v_mul_f16_e32 v152, 0xb9fd, v98
	v_fmamk_f16 v155, v84, 0x388b, v142
	v_mul_f16_e32 v157, 0x2fb7, v99
	v_fmamk_f16 v158, v85, 0xb5ac, v156
	v_add_f16_e32 v149, v151, v149
	v_fmamk_f16 v151, v72, 0xb94e, v152
	v_add_f16_e32 v155, v11, v155
	v_mul_f16_e32 v159, 0xb3a8, v103
	v_mul_f16_e32 v161, 0x394e, v108
	;; [unrolled: 1-line block ×3, first 2 shown]
	v_add_f16_e32 v149, v151, v149
	v_fmamk_f16 v151, v81, 0xbbf1, v157
	v_add_f16_e32 v155, v158, v155
	v_fmamk_f16 v158, v87, 0xbbc4, v159
	;; [unrolled: 2-line block ×3, first 2 shown]
	v_add_f16_e32 v149, v151, v149
	v_mul_f16_e32 v96, 0x388b, v96
	v_add_f16_e32 v151, v158, v155
	v_fmamk_f16 v155, v88, 0xb9fd, v161
	v_mul_f16_e32 v158, 0x3bf1, v112
	v_add_f16_e32 v12, v13, v12
	v_mul_f16_e32 v163, 0x3770, v113
	v_add_f16_e32 v162, v70, v162
	v_add_f16_e32 v151, v155, v151
	v_fmamk_f16 v155, v89, 0x2fb7, v158
	v_fmamk_f16 v164, v73, 0x3a95, v96
	v_mul_f16_e32 v97, 0x2fb7, v97
	v_add_f16_e32 v12, v14, v12
	v_mul_f16_e32 v98, 0xb5ac, v98
	v_add_f16_e32 v151, v155, v151
	v_fmamk_f16 v155, v90, 0x3b15, v163
	v_add_f16_e32 v162, v164, v162
	v_fmamk_f16 v164, v71, 0x3bf1, v97
	v_add_f16_e32 v13, v78, v70
	v_add_f16_e32 v12, v15, v12
	;; [unrolled: 1-line block ×3, first 2 shown]
	v_mul_f16_e32 v100, 0xb770, v100
	v_add_f16_e32 v155, v164, v162
	v_fmamk_f16 v162, v72, 0x3b7b, v98
	v_add_f16_e32 v13, v80, v13
	v_add_f16_e32 v12, v16, v12
	v_mul_f16_e32 v14, 0xba95, v101
	v_fmac_f16_e32 v102, 0xb94e, v82
	v_add_f16_e32 v78, v162, v155
	v_fmamk_f16 v162, v84, 0x3b15, v100
	v_add_f16_e32 v13, v76, v13
	v_add_f16_e32 v12, v17, v12
	v_fmamk_f16 v15, v85, 0x388b, v14
	v_mul_f16_e32 v76, 0xbbf1, v103
	v_add_f16_e32 v80, v11, v162
	v_add_f16_e32 v13, v79, v13
	v_add_f16_e32 v12, v18, v12
	v_mul_f16_e32 v79, 0xbb7b, v108
	v_fmamk_f16 v16, v87, 0x2fb7, v76
	v_add_f16_e32 v15, v15, v80
	v_add_f16_e32 v13, v75, v13
	;; [unrolled: 1-line block ×3, first 2 shown]
	v_mul_f16_e32 v18, 0xb94e, v112
	v_fmac_f16_e32 v104, 0x3bf1, v73
	v_add_f16_e32 v15, v16, v15
	v_fmamk_f16 v16, v88, 0xb5ac, v79
	v_add_f16_e32 v13, v77, v13
	v_add_f16_e32 v7, v8, v7
	v_fmac_f16_e32 v136, 0xba95, v82
	v_fmac_f16_e32 v150, 0xbb7b, v73
	v_add_f16_e32 v15, v16, v15
	v_add_f16_e32 v12, v74, v13
	v_fmamk_f16 v13, v89, 0xb9fd, v18
	v_mul_f16_e32 v16, 0xb3a8, v113
	v_add_f16_e32 v7, v9, v7
	v_mul_f16_e32 v154, 0xb94e, v113
	v_add_f16_e32 v8, v40, v12
	v_add_f16_e32 v12, v70, v102
	;; [unrolled: 1-line block ×3, first 2 shown]
	v_fmamk_f16 v15, v90, 0xbbc4, v16
	v_add_f16_e32 v7, v10, v7
	v_fma_f16 v10, v84, 0xb9fd, -v105
	v_add_f16_e32 v9, v104, v12
	v_add_f16_e32 v8, v39, v8
	;; [unrolled: 1-line block ×3, first 2 shown]
	v_fma_f16 v13, v85, 0x2fb7, -v115
	v_add_f16_e32 v10, v11, v10
	v_add_f16_e32 v7, v35, v7
	;; [unrolled: 1-line block ×3, first 2 shown]
	v_fma_f16 v35, v84, 0xb5ac, -v125
	v_fma_f16 v38, v85, 0xbbc4, -v143
	v_add_f16_e32 v10, v13, v10
	v_fma_f16 v13, v87, 0x388b, -v118
	v_add_f16_e32 v8, v36, v8
	v_add_f16_e32 v35, v11, v35
	v_fma_f16 v36, v85, 0xb9fd, -v129
	v_add_f16_e32 v39, v70, v136
	;; [unrolled: 3-line block ×3, first 2 shown]
	v_add_f16_e32 v35, v36, v35
	v_fma_f16 v36, v87, 0x3b15, -v132
	v_fma_f16 v37, v89, 0xbbc4, -v134
	v_add_f16_e32 v10, v13, v10
	v_fma_f16 v13, v89, 0x3b15, -v120
	v_add_f16_e32 v39, v150, v39
	v_fmac_f16_e32 v153, 0xb3a8, v71
	v_fmac_f16_e32 v119, 0xbb7b, v82
	;; [unrolled: 1-line block ×3, first 2 shown]
	v_add_f16_e32 v10, v13, v10
	v_fma_f16 v13, v90, 0xb5ac, -v124
	v_fmac_f16_e32 v95, 0xb770, v82
	v_fma_f16 v40, v84, 0x3b15, -v100
	v_add_f16_e32 v15, v70, v119
	v_fmac_f16_e32 v123, 0x394e, v73
	v_add_f16_e32 v10, v13, v10
	v_add_f16_e32 v13, v36, v35
	v_fma_f16 v35, v88, 0x2fb7, -v131
	v_add_f16_e32 v36, v70, v133
	v_fmac_f16_e32 v137, 0xb3a8, v73
	v_add_f16_e32 v70, v70, v95
	v_fmac_f16_e32 v96, 0xba95, v73
	v_add_f16_e32 v13, v35, v13
	v_fma_f16 v35, v84, 0x2fb7, -v139
	v_fma_f16 v14, v85, 0x388b, -v14
	v_mul_f16_e32 v99, 0xb9fd, v99
	v_fmamk_f16 v160, v90, 0xb9fd, v154
	v_add_f16_e32 v13, v37, v13
	v_add_f16_e32 v35, v11, v35
	v_fma_f16 v37, v87, 0xb5ac, -v146
	v_fmac_f16_e32 v107, 0xba95, v71
	v_add_f16_e32 v15, v123, v15
	v_fmac_f16_e32 v122, 0x3770, v71
	v_add_f16_e32 v35, v38, v35
	v_fma_f16 v38, v90, 0x388b, -v128
	v_add_f16_e32 v36, v137, v36
	v_fmac_f16_e32 v138, 0x3b7b, v71
	v_fmac_f16_e32 v97, 0xbbf1, v71
	v_add_f16_e32 v35, v37, v35
	v_fma_f16 v37, v88, 0x3b15, -v145
	v_add_f16_e32 v13, v38, v13
	v_add_f16_e32 v38, v153, v39
	v_fma_f16 v39, v84, 0x388b, -v142
	v_fmamk_f16 v155, v81, 0x394e, v99
	v_add_f16_e32 v35, v37, v35
	v_fma_f16 v37, v89, 0x388b, -v148
	v_mul_f16_e32 v101, 0xbbc4, v109
	v_add_f16_e32 v141, v160, v141
	v_mul_f16_e32 v160, 0x3b15, v109
	v_add_f16_e32 v9, v107, v9
	v_add_f16_e32 v35, v37, v35
	v_fma_f16 v37, v90, 0xb9fd, -v154
	v_fmac_f16_e32 v110, 0x33a8, v72
	v_add_f16_e32 v15, v122, v15
	v_fmac_f16_e32 v126, 0xbbf1, v72
	v_add_f16_e32 v36, v138, v36
	v_add_f16_e32 v35, v37, v35
	;; [unrolled: 1-line block ×3, first 2 shown]
	v_fma_f16 v39, v85, 0xb5ac, -v156
	v_add_f16_e32 v11, v11, v40
	v_add_f16_e32 v40, v96, v70
	v_fmac_f16_e32 v140, 0x3770, v72
	v_fmac_f16_e32 v152, 0x394e, v72
	v_add_f16_e32 v37, v39, v37
	v_fma_f16 v39, v87, 0xbbc4, -v159
	v_add_f16_e32 v11, v14, v11
	v_fma_f16 v14, v87, 0x2fb7, -v76
	v_add_f16_e32 v40, v97, v40
	v_fmac_f16_e32 v98, 0xbb7b, v72
	v_add_f16_e32 v37, v39, v37
	v_fma_f16 v39, v88, 0xb9fd, -v161
	v_add_f16_e32 v11, v14, v11
	v_fma_f16 v14, v88, 0xb5ac, -v79
	v_add_f16_e32 v78, v155, v78
	v_fmamk_f16 v17, v83, 0x33a8, v101
	v_add_f16_e32 v37, v39, v37
	v_fma_f16 v39, v89, 0x2fb7, -v158
	v_fmamk_f16 v165, v83, 0xb770, v160
	v_add_f16_e32 v9, v110, v9
	v_fmac_f16_e32 v116, 0x3770, v81
	v_add_f16_e32 v15, v126, v15
	v_fmac_f16_e32 v130, 0x33a8, v81
	;; [unrolled: 2-line block ×4, first 2 shown]
	v_add_f16_e32 v37, v39, v37
	v_add_f16_e32 v39, v98, v40
	v_fmac_f16_e32 v99, 0xb94e, v81
	v_add_f16_e32 v11, v14, v11
	v_fma_f16 v14, v89, 0xb9fd, -v18
	v_add_f16_e32 v17, v17, v78
	v_mov_b32_e32 v40, 2
	v_add_f16_e32 v149, v165, v149
	v_add_f16_e32 v9, v116, v9
	v_fmac_f16_e32 v117, 0xbb7b, v83
	v_add_f16_e32 v15, v130, v15
	v_fmac_f16_e32 v121, 0x3a95, v83
	;; [unrolled: 2-line block ×4, first 2 shown]
	v_fma_f16 v18, v90, 0x3b15, -v163
	v_add_f16_e32 v39, v99, v39
	v_fmac_f16_e32 v101, 0xb3a8, v83
	v_add_f16_e32 v11, v14, v11
	v_fma_f16 v14, v90, 0xbbc4, -v16
	v_lshlrev_b32_sdwa v16, v40, v34 dst_sel:DWORD dst_unused:UNUSED_PAD src0_sel:DWORD src1_sel:WORD_0
	v_pack_b32_f16 v12, v12, v17
	v_pack_b32_f16 v7, v7, v8
	;; [unrolled: 1-line block ×4, first 2 shown]
	v_add_f16_e32 v9, v117, v9
	v_add_f16_e32 v15, v121, v15
	;; [unrolled: 1-line block ×7, first 2 shown]
	ds_write2_b32 v16, v7, v12 offset1:1
	ds_write2_b32 v16, v17, v8 offset0:2 offset1:3
	v_pack_b32_f16 v7, v111, v94
	v_pack_b32_f16 v8, v127, v106
	;; [unrolled: 1-line block ×9, first 2 shown]
	ds_write2_b32 v16, v8, v7 offset0:4 offset1:5
	ds_write2_b32 v16, v14, v12 offset0:6 offset1:7
	;; [unrolled: 1-line block ×4, first 2 shown]
	ds_write_b32 v16, v11 offset:48
.LBB0_13:
	s_or_b32 exec_lo, exec_lo, s0
	v_add_nc_u32_e32 v7, 0xd00, v33
	v_add_nc_u32_e32 v8, 0x600, v33
	;; [unrolled: 1-line block ×3, first 2 shown]
	s_waitcnt lgkmcnt(0)
	s_barrier
	buffer_gl0_inv
	ds_read2_b32 v[10:11], v33 offset1:208
	ds_read2_b32 v[12:13], v7 offset1:208
	ds_read2_b32 v[14:15], v8 offset0:32 offset1:240
	ds_read2_b32 v[16:17], v9 offset0:32 offset1:240
	s_waitcnt lgkmcnt(0)
	s_barrier
	buffer_gl0_inv
	v_lshrrev_b32_e32 v35, 16, v12
	v_lshrrev_b32_e32 v36, 16, v13
	v_mul_f16_sdwa v70, v41, v12 dst_sel:DWORD dst_unused:UNUSED_PAD src0_sel:WORD_1 src1_sel:DWORD
	v_lshrrev_b32_e32 v38, 16, v16
	v_mul_f16_sdwa v71, v42, v13 dst_sel:DWORD dst_unused:UNUSED_PAD src0_sel:WORD_1 src1_sel:DWORD
	;; [unrolled: 2-line block ×3, first 2 shown]
	v_mul_f16_sdwa v74, v41, v35 dst_sel:DWORD dst_unused:UNUSED_PAD src0_sel:WORD_1 src1_sel:DWORD
	v_fma_f16 v35, v41, v35, -v70
	v_mul_f16_sdwa v70, v42, v36 dst_sel:DWORD dst_unused:UNUSED_PAD src0_sel:WORD_1 src1_sel:DWORD
	v_fma_f16 v36, v42, v36, -v71
	v_mul_f16_sdwa v71, v43, v38 dst_sel:DWORD dst_unused:UNUSED_PAD src0_sel:WORD_1 src1_sel:DWORD
	v_mul_f16_sdwa v73, v44, v17 dst_sel:DWORD dst_unused:UNUSED_PAD src0_sel:WORD_1 src1_sel:DWORD
	v_fma_f16 v38, v43, v38, -v72
	v_mul_f16_sdwa v72, v44, v40 dst_sel:DWORD dst_unused:UNUSED_PAD src0_sel:WORD_1 src1_sel:DWORD
	v_lshrrev_b32_e32 v18, 16, v10
	v_fmac_f16_e32 v74, v41, v12
	v_lshrrev_b32_e32 v34, 16, v11
	v_fmac_f16_e32 v70, v42, v13
	;; [unrolled: 2-line block ×3, first 2 shown]
	v_lshrrev_b32_e32 v39, 16, v15
	v_fma_f16 v40, v44, v40, -v73
	v_fmac_f16_e32 v72, v44, v17
	v_sub_f16_e32 v12, v18, v35
	v_sub_f16_e32 v35, v10, v74
	;; [unrolled: 1-line block ×8, first 2 shown]
	v_fma_f16 v18, v18, 2.0, -v12
	v_fma_f16 v10, v10, 2.0, -v35
	v_fma_f16 v34, v34, 2.0, -v13
	v_fma_f16 v11, v11, 2.0, -v36
	v_fma_f16 v14, v14, 2.0, -v38
	v_fma_f16 v37, v37, 2.0, -v16
	v_fma_f16 v15, v15, 2.0, -v40
	v_fma_f16 v39, v39, 2.0, -v17
	v_pack_b32_f16 v10, v10, v18
	v_pack_b32_f16 v12, v35, v12
	;; [unrolled: 1-line block ×8, first 2 shown]
	ds_write2_b32 v45, v10, v12 offset1:13
	ds_write2_b32 v46, v11, v13 offset1:13
	;; [unrolled: 1-line block ×4, first 2 shown]
	s_waitcnt lgkmcnt(0)
	s_barrier
	buffer_gl0_inv
	ds_read2_b32 v[10:11], v33 offset1:208
	ds_read2_b32 v[12:13], v7 offset1:208
	ds_read2_b32 v[14:15], v8 offset0:32 offset1:240
	ds_read2_b32 v[16:17], v9 offset0:32 offset1:240
	s_waitcnt lgkmcnt(0)
	s_barrier
	buffer_gl0_inv
	v_lshrrev_b32_e32 v18, 16, v10
	v_lshrrev_b32_e32 v34, 16, v12
	;; [unrolled: 1-line block ×4, first 2 shown]
	v_mul_f16_sdwa v42, v52, v12 dst_sel:DWORD dst_unused:UNUSED_PAD src0_sel:WORD_1 src1_sel:DWORD
	v_lshrrev_b32_e32 v40, 16, v17
	v_mul_f16_sdwa v41, v52, v34 dst_sel:DWORD dst_unused:UNUSED_PAD src0_sel:WORD_1 src1_sel:DWORD
	v_mul_f16_sdwa v43, v51, v13 dst_sel:DWORD dst_unused:UNUSED_PAD src0_sel:WORD_1 src1_sel:DWORD
	v_mul_f16_sdwa v44, v51, v36 dst_sel:DWORD dst_unused:UNUSED_PAD src0_sel:WORD_1 src1_sel:DWORD
	v_mul_f16_sdwa v45, v50, v38 dst_sel:DWORD dst_unused:UNUSED_PAD src0_sel:WORD_1 src1_sel:DWORD
	v_lshrrev_b32_e32 v35, 16, v11
	v_fmac_f16_e32 v41, v52, v12
	v_fma_f16 v12, v52, v34, -v42
	v_mul_f16_sdwa v34, v50, v16 dst_sel:DWORD dst_unused:UNUSED_PAD src0_sel:WORD_1 src1_sel:DWORD
	v_fmac_f16_e32 v44, v51, v13
	v_fma_f16 v13, v51, v36, -v43
	v_fmac_f16_e32 v45, v50, v16
	v_mul_f16_sdwa v16, v49, v40 dst_sel:DWORD dst_unused:UNUSED_PAD src0_sel:WORD_1 src1_sel:DWORD
	v_mul_f16_sdwa v36, v49, v17 dst_sel:DWORD dst_unused:UNUSED_PAD src0_sel:WORD_1 src1_sel:DWORD
	v_lshrrev_b32_e32 v37, 16, v14
	v_fma_f16 v34, v50, v38, -v34
	v_lshrrev_b32_e32 v39, 16, v15
	v_fmac_f16_e32 v16, v49, v17
	v_fma_f16 v36, v49, v40, -v36
	v_sub_f16_e32 v38, v10, v41
	v_sub_f16_e32 v12, v18, v12
	;; [unrolled: 1-line block ×8, first 2 shown]
	v_fma_f16 v10, v10, 2.0, -v38
	v_fma_f16 v18, v18, 2.0, -v12
	;; [unrolled: 1-line block ×8, first 2 shown]
	v_pack_b32_f16 v10, v10, v18
	v_pack_b32_f16 v12, v38, v12
	;; [unrolled: 1-line block ×8, first 2 shown]
	ds_write2_b32 v54, v10, v12 offset1:26
	ds_write2_b32 v55, v11, v13 offset1:26
	;; [unrolled: 1-line block ×4, first 2 shown]
	s_waitcnt lgkmcnt(0)
	s_barrier
	buffer_gl0_inv
	ds_read2_b32 v[10:11], v33 offset1:208
	ds_read2_b32 v[12:13], v8 offset0:32 offset1:240
	ds_read2_b32 v[14:15], v7 offset1:208
	ds_read2_b32 v[16:17], v9 offset0:32 offset1:240
	s_waitcnt lgkmcnt(0)
	s_barrier
	buffer_gl0_inv
	v_lshrrev_b32_e32 v18, 16, v10
	v_lshrrev_b32_e32 v34, 16, v12
	;; [unrolled: 1-line block ×5, first 2 shown]
	v_mul_f16_sdwa v41, v3, v12 dst_sel:DWORD dst_unused:UNUSED_PAD src0_sel:WORD_1 src1_sel:DWORD
	v_mul_f16_sdwa v40, v3, v34 dst_sel:DWORD dst_unused:UNUSED_PAD src0_sel:WORD_1 src1_sel:DWORD
	;; [unrolled: 1-line block ×4, first 2 shown]
	v_lshrrev_b32_e32 v39, 16, v15
	v_lshrrev_b32_e32 v43, 16, v17
	v_fmac_f16_e32 v40, v3, v12
	v_fma_f16 v3, v3, v34, -v41
	v_fmac_f16_e32 v42, v4, v14
	v_mul_f16_sdwa v12, v5, v36 dst_sel:DWORD dst_unused:UNUSED_PAD src0_sel:WORD_1 src1_sel:DWORD
	v_fma_f16 v4, v4, v35, -v44
	v_mul_f16_sdwa v14, v5, v16 dst_sel:DWORD dst_unused:UNUSED_PAD src0_sel:WORD_1 src1_sel:DWORD
	v_mul_f16_sdwa v34, v0, v38 dst_sel:DWORD dst_unused:UNUSED_PAD src0_sel:WORD_1 src1_sel:DWORD
	v_mul_f16_sdwa v35, v0, v13 dst_sel:DWORD dst_unused:UNUSED_PAD src0_sel:WORD_1 src1_sel:DWORD
	v_fmac_f16_e32 v12, v5, v16
	v_mul_f16_sdwa v16, v1, v39 dst_sel:DWORD dst_unused:UNUSED_PAD src0_sel:WORD_1 src1_sel:DWORD
	v_fma_f16 v5, v5, v36, -v14
	v_fmac_f16_e32 v34, v0, v13
	v_fma_f16 v0, v0, v38, -v35
	v_mul_f16_sdwa v14, v1, v15 dst_sel:DWORD dst_unused:UNUSED_PAD src0_sel:WORD_1 src1_sel:DWORD
	v_mul_f16_sdwa v35, v2, v43 dst_sel:DWORD dst_unused:UNUSED_PAD src0_sel:WORD_1 src1_sel:DWORD
	;; [unrolled: 1-line block ×3, first 2 shown]
	v_lshrrev_b32_e32 v37, 16, v11
	v_fmac_f16_e32 v16, v1, v15
	v_fma_f16 v1, v1, v39, -v14
	v_fmac_f16_e32 v35, v2, v17
	v_fma_f16 v2, v2, v43, -v36
	v_sub_f16_e32 v13, v10, v42
	v_sub_f16_e32 v12, v40, v12
	;; [unrolled: 1-line block ×8, first 2 shown]
	v_fma_f16 v10, v10, 2.0, -v13
	v_fma_f16 v15, v40, 2.0, -v12
	;; [unrolled: 1-line block ×8, first 2 shown]
	v_sub_f16_e32 v15, v10, v15
	v_sub_f16_e32 v3, v18, v3
	v_add_f16_e32 v5, v13, v5
	v_sub_f16_e32 v12, v4, v12
	v_sub_f16_e32 v34, v11, v34
	;; [unrolled: 1-line block ×3, first 2 shown]
	v_add_f16_e32 v2, v14, v2
	v_sub_f16_e32 v16, v1, v16
	v_fma_f16 v10, v10, 2.0, -v15
	v_fma_f16 v18, v18, 2.0, -v3
	;; [unrolled: 1-line block ×8, first 2 shown]
	v_pack_b32_f16 v10, v10, v18
	v_pack_b32_f16 v4, v13, v4
	;; [unrolled: 1-line block ×8, first 2 shown]
	ds_write2_b32 v60, v10, v4 offset1:52
	ds_write2_b32 v60, v3, v5 offset0:104 offset1:156
	ds_write2_b32 v59, v11, v1 offset1:52
	ds_write2_b32 v59, v0, v2 offset0:104 offset1:156
	s_waitcnt lgkmcnt(0)
	s_barrier
	buffer_gl0_inv
	ds_read2_b32 v[0:1], v7 offset1:208
	ds_read2_b32 v[2:3], v33 offset1:208
	ds_read2_b32 v[4:5], v8 offset0:32 offset1:240
	ds_read2_b32 v[10:11], v9 offset0:32 offset1:240
	s_waitcnt lgkmcnt(0)
	s_barrier
	buffer_gl0_inv
	v_lshrrev_b32_e32 v12, 16, v0
	v_lshrrev_b32_e32 v15, 16, v1
	v_mul_f16_sdwa v36, v63, v0 dst_sel:DWORD dst_unused:UNUSED_PAD src0_sel:WORD_1 src1_sel:DWORD
	v_lshrrev_b32_e32 v18, 16, v10
	v_lshrrev_b32_e32 v35, 16, v11
	v_mul_f16_sdwa v17, v63, v12 dst_sel:DWORD dst_unused:UNUSED_PAD src0_sel:WORD_1 src1_sel:DWORD
	v_mul_f16_sdwa v37, v63, v1 dst_sel:DWORD dst_unused:UNUSED_PAD src0_sel:WORD_1 src1_sel:DWORD
	v_fma_f16 v12, v63, v12, -v36
	v_mul_f16_sdwa v38, v62, v18 dst_sel:DWORD dst_unused:UNUSED_PAD src0_sel:WORD_1 src1_sel:DWORD
	v_mul_f16_sdwa v36, v62, v10 dst_sel:DWORD dst_unused:UNUSED_PAD src0_sel:WORD_1 src1_sel:DWORD
	v_fmac_f16_e32 v17, v63, v0
	v_mul_f16_sdwa v0, v63, v15 dst_sel:DWORD dst_unused:UNUSED_PAD src0_sel:WORD_1 src1_sel:DWORD
	v_lshrrev_b32_e32 v13, 16, v2
	v_fmac_f16_e32 v38, v62, v10
	v_mul_f16_sdwa v10, v61, v35 dst_sel:DWORD dst_unused:UNUSED_PAD src0_sel:WORD_1 src1_sel:DWORD
	v_lshrrev_b32_e32 v14, 16, v3
	v_fmac_f16_e32 v0, v63, v1
	v_fma_f16 v1, v63, v15, -v37
	v_fma_f16 v15, v62, v18, -v36
	v_mul_f16_sdwa v18, v61, v11 dst_sel:DWORD dst_unused:UNUSED_PAD src0_sel:WORD_1 src1_sel:DWORD
	v_lshrrev_b32_e32 v16, 16, v4
	v_lshrrev_b32_e32 v34, 16, v5
	v_fmac_f16_e32 v10, v61, v11
	v_sub_f16_e32 v17, v2, v17
	v_fma_f16 v11, v61, v35, -v18
	v_sub_f16_e32 v12, v13, v12
	v_sub_f16_e32 v0, v3, v0
	;; [unrolled: 1-line block ×7, first 2 shown]
	v_fma_f16 v2, v2, 2.0, -v17
	v_fma_f16 v13, v13, 2.0, -v12
	;; [unrolled: 1-line block ×8, first 2 shown]
	v_pack_b32_f16 v2, v2, v13
	v_pack_b32_f16 v12, v17, v12
	;; [unrolled: 1-line block ×6, first 2 shown]
	v_add_nc_u32_e32 v13, 0xd00, v53
	v_pack_b32_f16 v5, v5, v34
	v_pack_b32_f16 v10, v10, v11
	v_add_nc_u32_e32 v11, 0x1300, v58
	ds_write2_b32 v33, v2, v12 offset1:208
	ds_write2_b32 v8, v3, v0 offset0:32 offset1:240
	ds_write2_b32 v13, v1, v4 offset1:208
	ds_write2_b32 v11, v5, v10 offset0:32 offset1:240
	s_waitcnt lgkmcnt(0)
	s_barrier
	buffer_gl0_inv
	ds_read2_b32 v[0:1], v7 offset1:208
	ds_read2_b32 v[2:3], v33 offset1:208
	ds_read2_b32 v[4:5], v8 offset0:32 offset1:240
	ds_read2_b32 v[10:11], v9 offset0:32 offset1:240
	s_waitcnt lgkmcnt(0)
	s_barrier
	buffer_gl0_inv
	v_lshrrev_b32_e32 v12, 16, v0
	v_lshrrev_b32_e32 v15, 16, v1
	v_mul_f16_sdwa v36, v65, v0 dst_sel:DWORD dst_unused:UNUSED_PAD src0_sel:WORD_1 src1_sel:DWORD
	v_lshrrev_b32_e32 v18, 16, v10
	v_lshrrev_b32_e32 v35, 16, v11
	v_mul_f16_sdwa v17, v65, v12 dst_sel:DWORD dst_unused:UNUSED_PAD src0_sel:WORD_1 src1_sel:DWORD
	v_mul_f16_sdwa v37, v64, v1 dst_sel:DWORD dst_unused:UNUSED_PAD src0_sel:WORD_1 src1_sel:DWORD
	v_fma_f16 v12, v65, v12, -v36
	v_mul_f16_sdwa v38, v65, v18 dst_sel:DWORD dst_unused:UNUSED_PAD src0_sel:WORD_1 src1_sel:DWORD
	v_mul_f16_sdwa v36, v65, v10 dst_sel:DWORD dst_unused:UNUSED_PAD src0_sel:WORD_1 src1_sel:DWORD
	v_fmac_f16_e32 v17, v65, v0
	v_mul_f16_sdwa v0, v64, v15 dst_sel:DWORD dst_unused:UNUSED_PAD src0_sel:WORD_1 src1_sel:DWORD
	v_lshrrev_b32_e32 v13, 16, v2
	v_fmac_f16_e32 v38, v65, v10
	v_mul_f16_sdwa v10, v64, v35 dst_sel:DWORD dst_unused:UNUSED_PAD src0_sel:WORD_1 src1_sel:DWORD
	v_lshrrev_b32_e32 v14, 16, v3
	v_fmac_f16_e32 v0, v64, v1
	v_fma_f16 v1, v64, v15, -v37
	v_fma_f16 v15, v65, v18, -v36
	v_mul_f16_sdwa v18, v64, v11 dst_sel:DWORD dst_unused:UNUSED_PAD src0_sel:WORD_1 src1_sel:DWORD
	v_lshrrev_b32_e32 v16, 16, v4
	v_lshrrev_b32_e32 v34, 16, v5
	v_fmac_f16_e32 v10, v64, v11
	v_sub_f16_e32 v17, v2, v17
	v_fma_f16 v11, v64, v35, -v18
	v_sub_f16_e32 v12, v13, v12
	v_sub_f16_e32 v0, v3, v0
	;; [unrolled: 1-line block ×7, first 2 shown]
	v_fma_f16 v2, v2, 2.0, -v17
	v_fma_f16 v13, v13, 2.0, -v12
	;; [unrolled: 1-line block ×8, first 2 shown]
	v_pack_b32_f16 v2, v2, v13
	v_pack_b32_f16 v3, v3, v14
	;; [unrolled: 1-line block ×8, first 2 shown]
	ds_write2_b32 v33, v2, v3 offset1:208
	ds_write2_b32 v8, v12, v0 offset0:32 offset1:240
	ds_write2_b32 v7, v1, v5 offset1:208
	ds_write2_b32 v9, v4, v10 offset0:32 offset1:240
	s_waitcnt lgkmcnt(0)
	s_barrier
	buffer_gl0_inv
	ds_read2_b32 v[0:1], v7 offset1:208
	ds_read2_b32 v[2:3], v33 offset1:208
	ds_read2_b32 v[4:5], v8 offset0:32 offset1:240
	ds_read2_b32 v[10:11], v9 offset0:32 offset1:240
	s_waitcnt lgkmcnt(3)
	v_lshrrev_b32_e32 v12, 16, v0
	v_lshrrev_b32_e32 v15, 16, v1
	v_mul_f16_sdwa v36, v68, v0 dst_sel:DWORD dst_unused:UNUSED_PAD src0_sel:WORD_1 src1_sel:DWORD
	s_waitcnt lgkmcnt(0)
	v_lshrrev_b32_e32 v18, 16, v10
	v_lshrrev_b32_e32 v35, 16, v11
	v_mul_f16_sdwa v17, v68, v12 dst_sel:DWORD dst_unused:UNUSED_PAD src0_sel:WORD_1 src1_sel:DWORD
	v_mul_f16_sdwa v37, v67, v1 dst_sel:DWORD dst_unused:UNUSED_PAD src0_sel:WORD_1 src1_sel:DWORD
	v_fma_f16 v12, v68, v12, -v36
	v_mul_f16_sdwa v38, v69, v18 dst_sel:DWORD dst_unused:UNUSED_PAD src0_sel:WORD_1 src1_sel:DWORD
	v_mul_f16_sdwa v36, v69, v10 dst_sel:DWORD dst_unused:UNUSED_PAD src0_sel:WORD_1 src1_sel:DWORD
	v_fmac_f16_e32 v17, v68, v0
	v_mul_f16_sdwa v0, v67, v15 dst_sel:DWORD dst_unused:UNUSED_PAD src0_sel:WORD_1 src1_sel:DWORD
	v_lshrrev_b32_e32 v13, 16, v2
	v_fmac_f16_e32 v38, v69, v10
	v_mul_f16_sdwa v10, v66, v35 dst_sel:DWORD dst_unused:UNUSED_PAD src0_sel:WORD_1 src1_sel:DWORD
	v_lshrrev_b32_e32 v14, 16, v3
	v_fmac_f16_e32 v0, v67, v1
	v_fma_f16 v1, v67, v15, -v37
	v_fma_f16 v15, v69, v18, -v36
	v_mul_f16_sdwa v18, v66, v11 dst_sel:DWORD dst_unused:UNUSED_PAD src0_sel:WORD_1 src1_sel:DWORD
	v_lshrrev_b32_e32 v16, 16, v4
	v_lshrrev_b32_e32 v34, 16, v5
	v_fmac_f16_e32 v10, v66, v11
	v_sub_f16_e32 v17, v2, v17
	v_fma_f16 v11, v66, v35, -v18
	v_sub_f16_e32 v12, v13, v12
	v_sub_f16_e32 v0, v3, v0
	v_sub_f16_e32 v1, v14, v1
	v_sub_f16_e32 v18, v4, v38
	v_sub_f16_e32 v15, v16, v15
	v_sub_f16_e32 v10, v5, v10
	v_sub_f16_e32 v11, v34, v11
	v_fma_f16 v2, v2, 2.0, -v17
	v_fma_f16 v13, v13, 2.0, -v12
	;; [unrolled: 1-line block ×8, first 2 shown]
	v_pack_b32_f16 v2, v2, v13
	v_pack_b32_f16 v3, v3, v14
	;; [unrolled: 1-line block ×8, first 2 shown]
	ds_write2_b32 v33, v2, v3 offset1:208
	ds_write2_b32 v7, v12, v0 offset1:208
	ds_write2_b32 v8, v1, v5 offset0:32 offset1:240
	ds_write2_b32 v9, v4, v10 offset0:32 offset1:240
	s_waitcnt lgkmcnt(0)
	s_barrier
	buffer_gl0_inv
	s_and_b32 exec_lo, exec_lo, vcc_lo
	s_cbranch_execz .LBB0_15
; %bb.14:
	s_clause 0x3
	global_load_dword v17, v23, s[12:13]
	global_load_dword v18, v23, s[12:13] offset:512
	global_load_dword v34, v23, s[12:13] offset:1024
	;; [unrolled: 1-line block ×3, first 2 shown]
	v_lshlrev_b32_e32 v0, 2, v28
	v_lshlrev_b32_e32 v1, 2, v27
	v_mad_u64_u32 v[7:8], null, s18, v6, 0
	s_clause 0x1
	global_load_dword v40, v0, s[12:13]
	global_load_dword v38, v1, s[12:13]
	ds_read_b32 v41, v33
	v_mad_u64_u32 v[9:10], null, s16, v29, 0
	v_mad_u64_u32 v[11:12], null, s16, v30, 0
	;; [unrolled: 1-line block ×4, first 2 shown]
	v_lshlrev_b32_e32 v33, 2, v26
	ds_read2st64_b32 v[2:3], v23 offset0:6 offset1:8
	v_lshlrev_b32_e32 v35, 2, v25
	v_lshlrev_b32_e32 v37, 2, v24
	;; [unrolled: 1-line block ×5, first 2 shown]
	ds_read2st64_b32 v[4:5], v23 offset0:2 offset1:4
	ds_read2st64_b32 v[0:1], v23 offset0:10 offset1:12
	v_lshlrev_b32_e32 v46, 2, v19
	s_clause 0x6
	global_load_dword v54, v33, s[12:13]
	global_load_dword v43, v35, s[12:13]
	;; [unrolled: 1-line block ×7, first 2 shown]
	v_mad_u64_u32 v[44:45], null, s19, v6, v[8:9]
	v_mad_u64_u32 v[45:46], null, s17, v29, v[10:11]
	;; [unrolled: 1-line block ×3, first 2 shown]
	s_mov_b32 s20, 0x13b13b14
	s_mov_b32 s21, 0x3f43b13b
	v_mov_b32_e32 v8, v44
	v_mov_b32_e32 v10, v45
	s_waitcnt lgkmcnt(2)
	v_lshrrev_b32_e32 v48, 16, v2
	v_mov_b32_e32 v12, v29
	v_lshlrev_b64 v[6:7], 2, v[7:8]
	v_lshrrev_b32_e32 v49, 16, v3
	v_lshlrev_b64 v[8:9], 2, v[9:10]
	s_waitcnt lgkmcnt(1)
	v_lshrrev_b32_e32 v46, 16, v4
	v_lshlrev_b64 v[10:11], 2, v[11:12]
	v_lshrrev_b32_e32 v47, 16, v5
	s_waitcnt lgkmcnt(0)
	v_lshrrev_b32_e32 v52, 16, v0
	v_add_co_u32 v6, vcc_lo, s6, v6
	v_add_co_ci_u32_e32 v7, vcc_lo, s7, v7, vcc_lo
	v_add_co_u32 v8, vcc_lo, v6, v8
	v_add_co_ci_u32_e32 v9, vcc_lo, v7, v9, vcc_lo
	;; [unrolled: 2-line block ×3, first 2 shown]
	s_waitcnt vmcnt(12)
	v_mad_u64_u32 v[30:31], null, s17, v31, v[16:17]
	v_mad_u64_u32 v[31:32], null, s17, v32, v[14:15]
	v_lshrrev_b32_e32 v32, 16, v41
	v_mul_f16_sdwa v29, v41, v17 dst_sel:DWORD dst_unused:UNUSED_PAD src0_sel:DWORD src1_sel:WORD_1
	s_waitcnt vmcnt(9)
	v_mul_f16_sdwa v50, v48, v36 dst_sel:DWORD dst_unused:UNUSED_PAD src0_sel:DWORD src1_sel:WORD_1
	v_mul_f16_sdwa v44, v47, v34 dst_sel:DWORD dst_unused:UNUSED_PAD src0_sel:DWORD src1_sel:WORD_1
	v_mov_b32_e32 v16, v30
	v_mul_f16_sdwa v30, v46, v18 dst_sel:DWORD dst_unused:UNUSED_PAD src0_sel:DWORD src1_sel:WORD_1
	v_mov_b32_e32 v14, v31
	v_mul_f16_sdwa v51, v2, v36 dst_sel:DWORD dst_unused:UNUSED_PAD src0_sel:DWORD src1_sel:WORD_1
	v_fmac_f16_e32 v50, v2, v36
	v_mul_f16_sdwa v31, v4, v18 dst_sel:DWORD dst_unused:UNUSED_PAD src0_sel:DWORD src1_sel:WORD_1
	v_mul_f16_sdwa v45, v5, v34 dst_sel:DWORD dst_unused:UNUSED_PAD src0_sel:DWORD src1_sel:WORD_1
	v_lshlrev_b64 v[12:13], 2, v[13:14]
	v_mul_f16_sdwa v14, v32, v17 dst_sel:DWORD dst_unused:UNUSED_PAD src0_sel:DWORD src1_sel:WORD_1
	v_fmac_f16_e32 v30, v4, v18
	v_fmac_f16_e32 v44, v5, v34
	v_lshlrev_b64 v[15:16], 2, v[15:16]
	v_fmac_f16_e32 v14, v41, v17
	v_fma_f16 v17, v17, v32, -v29
	v_fma_f16 v29, v18, v46, -v31
	;; [unrolled: 1-line block ×4, first 2 shown]
	v_cvt_f32_f16_e32 v2, v14
	v_cvt_f32_f16_e32 v14, v17
	;; [unrolled: 1-line block ×3, first 2 shown]
	s_waitcnt vmcnt(8)
	v_mul_f16_sdwa v36, v49, v40 dst_sel:DWORD dst_unused:UNUSED_PAD src0_sel:DWORD src1_sel:WORD_1
	v_mul_f16_sdwa v41, v3, v40 dst_sel:DWORD dst_unused:UNUSED_PAD src0_sel:DWORD src1_sel:WORD_1
	v_cvt_f64_f32_e32 v[4:5], v2
	v_cvt_f64_f32_e32 v[17:18], v14
	v_cvt_f32_f16_e32 v2, v30
	v_cvt_f32_f16_e32 v44, v44
	;; [unrolled: 1-line block ×3, first 2 shown]
	v_cvt_f64_f32_e32 v[31:32], v32
	v_fmac_f16_e32 v36, v3, v40
	v_cvt_f64_f32_e32 v[29:30], v2
	v_fma_f16 v40, v40, v49, -v41
	v_cvt_f64_f32_e32 v[2:3], v44
	v_cvt_f32_f16_e32 v46, v50
	v_cvt_f32_f16_e32 v34, v34
	v_cvt_f32_f16_e32 v36, v36
	v_cvt_f32_f16_e32 v50, v40
	v_cvt_f64_f32_e32 v[40:41], v45
	v_cvt_f64_f32_e32 v[44:45], v46
	;; [unrolled: 1-line block ×3, first 2 shown]
	s_waitcnt vmcnt(7)
	v_mul_f16_sdwa v14, v52, v38 dst_sel:DWORD dst_unused:UNUSED_PAD src0_sel:DWORD src1_sel:WORD_1
	v_cvt_f64_f32_e32 v[48:49], v36
	v_cvt_f64_f32_e32 v[50:51], v50
	v_mul_f64 v[4:5], v[4:5], s[20:21]
	v_mul_f64 v[17:18], v[17:18], s[20:21]
	v_fmac_f16_e32 v14, v0, v38
	v_mul_f16_sdwa v0, v0, v38 dst_sel:DWORD dst_unused:UNUSED_PAD src0_sel:DWORD src1_sel:WORD_1
	v_mul_f64 v[31:32], v[31:32], s[20:21]
	v_mul_f64 v[29:30], v[29:30], s[20:21]
	v_cvt_f32_f16_e32 v34, v14
	v_mul_f64 v[2:3], v[2:3], s[20:21]
	v_add_co_u32 v14, vcc_lo, v6, v15
	v_add_co_ci_u32_e32 v15, vcc_lo, v7, v16, vcc_lo
	v_mul_f64 v[40:41], v[40:41], s[20:21]
	v_mul_f64 v[44:45], v[44:45], s[20:21]
	;; [unrolled: 1-line block ×3, first 2 shown]
	v_fma_f16 v0, v38, v52, -v0
	v_mul_f64 v[48:49], v[48:49], s[20:21]
	v_mul_f64 v[50:51], v[50:51], s[20:21]
	v_cvt_f64_f32_e32 v[52:53], v34
	v_and_or_b32 v4, 0x1ff, v5, v4
	v_and_or_b32 v17, 0x1ff, v18, v17
	v_lshrrev_b32_e32 v16, 8, v5
	v_bfe_u32 v34, v5, 20, 11
	v_lshrrev_b32_e32 v36, 8, v18
	v_cmp_ne_u32_e32 vcc_lo, 0, v4
	v_and_or_b32 v31, 0x1ff, v32, v31
	v_and_or_b32 v29, 0x1ff, v30, v29
	v_bfe_u32 v38, v18, 20, 11
	v_and_or_b32 v2, 0x1ff, v3, v2
	v_cndmask_b32_e64 v4, 0, 1, vcc_lo
	v_cmp_ne_u32_e32 vcc_lo, 0, v17
	v_bfe_u32 v60, v3, 20, 11
	v_lshrrev_b32_e32 v55, 8, v30
	v_and_or_b32 v40, 0x1ff, v41, v40
	v_and_or_b32 v44, 0x1ff, v45, v44
	v_cndmask_b32_e64 v17, 0, 1, vcc_lo
	v_cmp_ne_u32_e32 vcc_lo, 0, v29
	v_and_or_b32 v46, 0x1ff, v47, v46
	v_and_or_b32 v48, 0x1ff, v49, v48
	;; [unrolled: 1-line block ×3, first 2 shown]
	v_bfe_u32 v62, v41, 20, 11
	v_cndmask_b32_e64 v29, 0, 1, vcc_lo
	v_cmp_ne_u32_e32 vcc_lo, 0, v31
	v_and_or_b32 v4, 0xffe, v16, v4
	v_lshrrev_b32_e32 v59, 8, v3
	v_lshrrev_b32_e32 v61, 8, v41
	v_bfe_u32 v64, v45, 20, 11
	v_cndmask_b32_e64 v31, 0, 1, vcc_lo
	v_cmp_ne_u32_e32 vcc_lo, 0, v2
	v_bfe_u32 v66, v47, 20, 11
	v_sub_nc_u32_e32 v67, 0x3f1, v34
	v_add_nc_u32_e32 v34, 0xfffffc10, v34
	v_sub_nc_u32_e32 v71, 0x3f1, v60
	v_cndmask_b32_e64 v2, 0, 1, vcc_lo
	v_cmp_ne_u32_e32 vcc_lo, 0, v40
	v_sub_nc_u32_e32 v72, 0x3f1, v62
	v_and_or_b32 v17, 0xffe, v36, v17
	v_bfe_u32 v56, v30, 20, 11
	v_lshrrev_b32_e32 v57, 8, v32
	v_cndmask_b32_e64 v40, 0, 1, vcc_lo
	v_cmp_ne_u32_e32 vcc_lo, 0, v44
	v_bfe_u32 v58, v32, 20, 11
	v_lshrrev_b32_e32 v63, 8, v45
	v_lshrrev_b32_e32 v65, 8, v47
	v_sub_nc_u32_e32 v68, 0x3f1, v38
	v_cndmask_b32_e64 v44, 0, 1, vcc_lo
	v_cmp_ne_u32_e32 vcc_lo, 0, v46
	v_add_nc_u32_e32 v38, 0xfffffc10, v38
	v_sub_nc_u32_e32 v73, 0x3f1, v64
	v_sub_nc_u32_e32 v74, 0x3f1, v66
	v_and_or_b32 v29, 0xffe, v55, v29
	v_cndmask_b32_e64 v46, 0, 1, vcc_lo
	v_cmp_ne_u32_e32 vcc_lo, 0, v48
	v_and_or_b32 v2, 0xffe, v59, v2
	v_med3_i32 v59, v71, 0, 13
	v_and_or_b32 v40, 0xffe, v61, v40
	v_med3_i32 v61, v72, 0, 13
	v_cndmask_b32_e64 v48, 0, 1, vcc_lo
	v_cmp_ne_u32_e32 vcc_lo, 0, v50
	v_or_b32_e32 v71, 0x1000, v4
	v_lshl_or_b32 v72, v34, 12, v4
	v_sub_nc_u32_e32 v69, 0x3f1, v56
	v_add_nc_u32_e32 v56, 0xfffffc10, v56
	v_cndmask_b32_e64 v50, 0, 1, vcc_lo
	v_cmp_ne_u32_e32 vcc_lo, 0, v4
	v_sub_nc_u32_e32 v70, 0x3f1, v58
	v_bfe_u32 v76, v49, 20, 11
	v_bfe_u32 v78, v51, 20, 11
	v_and_or_b32 v31, 0xffe, v57, v31
	v_cndmask_b32_e64 v4, 0, 1, vcc_lo
	v_cmp_ne_u32_e32 vcc_lo, 0, v17
	v_and_or_b32 v44, 0xffe, v63, v44
	v_med3_i32 v63, v73, 0, 13
	v_and_or_b32 v46, 0xffe, v65, v46
	v_med3_i32 v65, v74, 0, 13
	v_or_b32_e32 v73, 0x1000, v17
	v_lshl_or_b32 v74, v38, 12, v17
	v_cndmask_b32_e64 v17, 0, 1, vcc_lo
	v_cmp_ne_u32_e32 vcc_lo, 0, v29
	v_add_nc_u32_e32 v58, 0xfffffc10, v58
	v_med3_i32 v16, v67, 0, 13
	v_med3_i32 v36, v68, 0, 13
	;; [unrolled: 1-line block ×4, first 2 shown]
	v_sub_nc_u32_e32 v67, 0x3f1, v76
	v_add_nc_u32_e32 v68, 0xfffffc10, v76
	v_sub_nc_u32_e32 v69, 0x3f1, v78
	v_add_nc_u32_e32 v70, 0xfffffc10, v78
	v_or_b32_e32 v76, 0x1000, v29
	v_lshl_or_b32 v78, v56, 12, v29
	v_cndmask_b32_e64 v29, 0, 1, vcc_lo
	v_cmp_ne_u32_e32 vcc_lo, 0, v31
	v_add_nc_u32_e32 v60, 0xfffffc10, v60
	v_or_b32_e32 v79, 0x1000, v31
	v_lshl_or_b32 v80, v58, 12, v31
	v_add_nc_u32_e32 v62, 0xfffffc10, v62
	v_cndmask_b32_e64 v31, 0, 1, vcc_lo
	v_cmp_ne_u32_e32 vcc_lo, 0, v2
	v_lshrrev_b32_e32 v75, 8, v49
	v_or_b32_e32 v81, 0x1000, v2
	v_lshl_or_b32 v82, v60, 12, v2
	v_add_nc_u32_e32 v64, 0xfffffc10, v64
	v_cndmask_b32_e64 v2, 0, 1, vcc_lo
	v_cmp_ne_u32_e32 vcc_lo, 0, v40
	v_lshrrev_b32_e32 v77, 8, v51
	v_or_b32_e32 v83, 0x1000, v40
	v_lshl_or_b32 v84, v62, 12, v40
	v_and_or_b32 v48, 0xffe, v75, v48
	v_cndmask_b32_e64 v40, 0, 1, vcc_lo
	v_cmp_ne_u32_e32 vcc_lo, 0, v44
	v_lshrrev_b32_e32 v75, v16, v71
	v_add_nc_u32_e32 v66, 0xfffffc10, v66
	v_or_b32_e32 v85, 0x1000, v44
	v_lshl_or_b32 v86, v64, 12, v44
	v_cndmask_b32_e64 v44, 0, 1, vcc_lo
	v_cmp_ne_u32_e32 vcc_lo, 0, v46
	v_and_or_b32 v50, 0xffe, v77, v50
	v_lshrrev_b32_e32 v77, v36, v73
	v_lshlrev_b32_e32 v16, v16, v75
	v_or_b32_e32 v87, 0x1000, v46
	v_lshl_or_b32 v88, v66, 12, v46
	v_cndmask_b32_e64 v46, 0, 1, vcc_lo
	v_lshrrev_b32_e32 v89, v55, v76
	v_lshlrev_b32_e32 v36, v36, v77
	v_cmp_ne_u32_e32 vcc_lo, v16, v71
	v_lshrrev_b32_e32 v90, v57, v79
	v_lshrrev_b32_e32 v91, v59, v81
	v_lshlrev_b32_e32 v55, v55, v89
	v_lshrrev_b32_e32 v92, v61, v83
	v_cndmask_b32_e64 v16, 0, 1, vcc_lo
	v_cmp_ne_u32_e32 vcc_lo, v36, v73
	v_lshlrev_b32_e32 v57, v57, v90
	v_lshlrev_b32_e32 v59, v59, v91
	v_lshrrev_b32_e32 v93, v63, v85
	v_lshlrev_b32_e32 v61, v61, v92
	v_cndmask_b32_e64 v36, 0, 1, vcc_lo
	v_cmp_ne_u32_e32 vcc_lo, v55, v76
	v_med3_i32 v67, v67, 0, 13
	v_lshrrev_b32_e32 v94, v65, v87
	v_or_b32_e32 v95, 0x1000, v48
	v_lshlrev_b32_e32 v63, v63, v93
	v_cndmask_b32_e64 v55, 0, 1, vcc_lo
	v_cmp_ne_u32_e32 vcc_lo, v57, v79
	v_med3_i32 v69, v69, 0, 13
	v_or_b32_e32 v97, 0x1000, v50
	v_lshlrev_b32_e32 v65, v65, v94
	v_lshrrev_b32_e32 v99, v67, v95
	v_cndmask_b32_e64 v57, 0, 1, vcc_lo
	v_cmp_ne_u32_e32 vcc_lo, v59, v81
	v_lshrrev_b32_e32 v100, v69, v97
	v_or_b32_e32 v16, v75, v16
	v_lshlrev_b32_e32 v67, v67, v99
	v_or_b32_e32 v36, v77, v36
	v_cndmask_b32_e64 v59, 0, 1, vcc_lo
	v_cmp_ne_u32_e32 vcc_lo, v61, v83
	v_lshlrev_b32_e32 v69, v69, v100
	v_or_b32_e32 v55, v89, v55
	v_or_b32_e32 v57, v90, v57
	;; [unrolled: 1-line block ×3, first 2 shown]
	v_cndmask_b32_e64 v61, 0, 1, vcc_lo
	v_cmp_ne_u32_e32 vcc_lo, v63, v85
	v_lshl_or_b32 v96, v68, 12, v48
	v_lshl_or_b32 v4, v4, 9, 0x7c00
	;; [unrolled: 1-line block ×3, first 2 shown]
	v_or_b32_e32 v61, v92, v61
	v_cndmask_b32_e64 v63, 0, 1, vcc_lo
	v_cmp_ne_u32_e32 vcc_lo, v65, v87
	v_lshl_or_b32 v29, v29, 9, 0x7c00
	v_lshl_or_b32 v31, v31, 9, 0x7c00
	;; [unrolled: 1-line block ×3, first 2 shown]
	v_or_b32_e32 v63, v93, v63
	v_cndmask_b32_e64 v65, 0, 1, vcc_lo
	v_cmp_ne_u32_e32 vcc_lo, v67, v95
	v_lshrrev_b32_e32 v5, 16, v5
	v_lshrrev_b32_e32 v18, 16, v18
	v_lshrrev_b32_e32 v30, 16, v30
	v_or_b32_e32 v65, v94, v65
	v_cndmask_b32_e64 v67, 0, 1, vcc_lo
	v_cmp_ne_u32_e32 vcc_lo, v69, v97
	v_lshrrev_b32_e32 v3, 16, v3
	v_lshl_or_b32 v40, v40, 9, 0x7c00
	v_lshrrev_b32_e32 v32, 16, v32
	v_or_b32_e32 v67, v99, v67
	v_cndmask_b32_e64 v69, 0, 1, vcc_lo
	v_cmp_gt_i32_e32 vcc_lo, 1, v34
	v_lshrrev_b32_e32 v41, 16, v41
	v_lshl_or_b32 v44, v44, 9, 0x7c00
	v_lshl_or_b32 v46, v46, 9, 0x7c00
	;; [unrolled: 1-line block ×3, first 2 shown]
	v_cndmask_b32_e32 v16, v72, v16, vcc_lo
	v_cmp_gt_i32_e32 vcc_lo, 1, v38
	v_or_b32_e32 v69, v100, v69
	v_cvt_f32_f16_e32 v0, v0
	v_lshrrev_b32_e32 v45, 16, v45
	v_and_b32_e32 v71, 7, v16
	v_cndmask_b32_e32 v36, v74, v36, vcc_lo
	v_cmp_gt_i32_e32 vcc_lo, 1, v56
	v_lshrrev_b32_e32 v16, 2, v16
	v_lshrrev_b32_e32 v47, 16, v47
	v_cmp_eq_u32_e64 s0, 3, v71
	v_and_b32_e32 v72, 7, v36
	v_cndmask_b32_e32 v55, v78, v55, vcc_lo
	v_cmp_gt_i32_e32 vcc_lo, 1, v58
	v_lshrrev_b32_e32 v36, 2, v36
	v_cmp_lt_i32_e64 s1, 5, v72
	v_and_b32_e32 v73, 7, v55
	v_cndmask_b32_e32 v57, v80, v57, vcc_lo
	v_cmp_gt_i32_e32 vcc_lo, 1, v60
	v_cmp_eq_u32_e64 s2, 3, v72
	v_lshrrev_b32_e32 v55, 2, v55
	v_cmp_lt_i32_e64 s3, 5, v73
	v_and_b32_e32 v74, 7, v57
	v_cndmask_b32_e32 v59, v82, v59, vcc_lo
	v_cmp_gt_i32_e32 vcc_lo, 1, v62
	v_cmp_eq_u32_e64 s4, 3, v73
	;; [unrolled: 6-line block ×5, first 2 shown]
	v_lshrrev_b32_e32 v63, 2, v63
	v_cmp_lt_i32_e64 s11, 5, v77
	v_and_b32_e32 v78, 7, v65
	v_cndmask_b32_e32 v67, v96, v67, vcc_lo
	v_cmp_lt_i32_e32 vcc_lo, 5, v71
	v_cmp_eq_u32_e64 s12, 3, v77
	v_lshrrev_b32_e32 v65, 2, v65
	v_cmp_lt_i32_e64 s13, 5, v78
	v_cmp_eq_u32_e64 s14, 3, v78
	s_or_b32 vcc_lo, s0, vcc_lo
	v_and_b32_e32 v71, 7, v67
	v_add_co_ci_u32_e32 v16, vcc_lo, 0, v16, vcc_lo
	s_or_b32 vcc_lo, s2, s1
	v_cmp_gt_i32_e64 s1, 1, v70
	v_add_co_ci_u32_e32 v36, vcc_lo, 0, v36, vcc_lo
	s_or_b32 vcc_lo, s4, s3
	v_cmp_eq_u32_e64 s0, 3, v71
	v_add_co_ci_u32_e32 v55, vcc_lo, 0, v55, vcc_lo
	s_or_b32 vcc_lo, s6, s5
	v_add_co_ci_u32_e32 v57, vcc_lo, 0, v57, vcc_lo
	s_or_b32 vcc_lo, s8, s7
	v_add_co_ci_u32_e32 v59, vcc_lo, 0, v59, vcc_lo
	s_or_b32 vcc_lo, s10, s9
	v_add_co_ci_u32_e32 v61, vcc_lo, 0, v61, vcc_lo
	s_or_b32 vcc_lo, s12, s11
	v_add_co_ci_u32_e32 v63, vcc_lo, 0, v63, vcc_lo
	s_or_b32 vcc_lo, s14, s13
	v_add_co_ci_u32_e32 v65, vcc_lo, 0, v65, vcc_lo
	v_cmp_gt_i32_e32 vcc_lo, 31, v34
	v_cndmask_b32_e32 v16, 0x7c00, v16, vcc_lo
	v_cmp_gt_i32_e32 vcc_lo, 31, v38
	v_cndmask_b32_e32 v36, 0x7c00, v36, vcc_lo
	;; [unrolled: 2-line block ×8, first 2 shown]
	v_cmp_eq_u32_e32 vcc_lo, 0x40f, v34
	v_cndmask_b32_e32 v4, v16, v4, vcc_lo
	v_cmp_eq_u32_e32 vcc_lo, 0x40f, v38
	v_and_or_b32 v4, 0x8000, v5, v4
	v_cndmask_b32_e32 v16, v36, v17, vcc_lo
	v_cmp_eq_u32_e32 vcc_lo, 0x40f, v56
	v_and_b32_e32 v4, 0xffff, v4
	v_and_or_b32 v5, 0x8000, v18, v16
	v_cndmask_b32_e32 v17, v55, v29, vcc_lo
	v_cmp_eq_u32_e32 vcc_lo, 0x40f, v58
	v_lshl_or_b32 v4, v5, 16, v4
	v_and_or_b32 v16, 0x8000, v30, v17
	v_cndmask_b32_e32 v29, v57, v31, vcc_lo
	v_cmp_eq_u32_e32 vcc_lo, 0x40f, v60
	v_and_b32_e32 v16, 0xffff, v16
	v_and_or_b32 v17, 0x8000, v32, v29
	v_cndmask_b32_e32 v2, v59, v2, vcc_lo
	v_cmp_eq_u32_e32 vcc_lo, 0x40f, v62
	v_lshl_or_b32 v5, v17, 16, v16
	;; [unrolled: 8-line block ×3, first 2 shown]
	global_store_dword v[8:9], v4, off
	global_store_dword v[10:11], v5, off
	;; [unrolled: 1-line block ×3, first 2 shown]
	v_cndmask_b32_e32 v36, v65, v46, vcc_lo
	v_cmp_lt_i32_e32 vcc_lo, 5, v71
	v_lshrrev_b32_e32 v11, 2, v67
	v_cndmask_b32_e64 v10, v98, v69, s1
	v_cvt_f64_f32_e32 v[8:9], v0
	v_mul_f64 v[2:3], v[52:53], s[20:21]
	s_or_b32 vcc_lo, s0, vcc_lo
	v_add_co_u32 v4, s1, v6, v12
	v_add_co_ci_u32_e32 v11, vcc_lo, 0, v11, vcc_lo
	v_and_b32_e32 v0, 7, v10
	v_cmp_ne_u32_e32 vcc_lo, 0, v48
	v_add_co_ci_u32_e64 v5, s1, v7, v13, s1
	v_cmp_gt_i32_e64 s1, 31, v68
	v_cmp_eq_u32_e64 s0, 3, v0
	v_cndmask_b32_e64 v12, 0, 1, vcc_lo
	v_cmp_lt_i32_e32 vcc_lo, 5, v0
	v_lshrrev_b32_e32 v0, 2, v10
	v_cndmask_b32_e64 v10, 0x7c00, v11, s1
	v_and_or_b32 v18, 0x8000, v45, v34
	v_lshl_or_b32 v11, v12, 9, 0x7c00
	s_or_b32 vcc_lo, s0, vcc_lo
	v_and_or_b32 v29, 0x8000, v47, v36
	v_add_co_ci_u32_e32 v0, vcc_lo, 0, v0, vcc_lo
	v_cmp_eq_u32_e32 vcc_lo, 0x40f, v68
	v_and_or_b32 v2, 0x1ff, v3, v2
	v_mul_f64 v[8:9], v[8:9], s[20:21]
	v_lshrrev_b32_e32 v14, 8, v3
	v_bfe_u32 v15, v3, 20, 11
	v_cndmask_b32_e32 v12, v10, v11, vcc_lo
	v_cmp_gt_i32_e32 vcc_lo, 31, v70
	v_and_b32_e32 v18, 0xffff, v18
	v_lshrrev_b32_e32 v13, 16, v49
	v_cndmask_b32_e32 v0, 0x7c00, v0, vcc_lo
	v_cmp_ne_u32_e32 vcc_lo, 0, v50
	v_lshl_or_b32 v16, v29, 16, v18
	v_lshrrev_b32_e32 v18, 16, v51
	v_cndmask_b32_e64 v10, 0, 1, vcc_lo
	v_cmp_ne_u32_e32 vcc_lo, 0, v2
	global_store_dword v[4:5], v16, off
	v_and_or_b32 v16, 0x8000, v13, v12
	v_lshl_or_b32 v17, v10, 9, 0x7c00
	v_cndmask_b32_e64 v2, 0, 1, vcc_lo
	v_mad_u64_u32 v[10:11], null, s16, v28, 0
	v_cmp_eq_u32_e32 vcc_lo, 0x40f, v70
	v_and_or_b32 v8, 0x1ff, v9, v8
	v_and_or_b32 v2, 0xffe, v14, v2
	v_sub_nc_u32_e32 v14, 0x3f1, v15
	v_lshrrev_b32_e32 v12, 8, v9
	v_cndmask_b32_e32 v17, v0, v17, vcc_lo
	v_mov_b32_e32 v0, v11
	v_or_b32_e32 v29, 0x1000, v2
	v_med3_i32 v14, v14, 0, 13
	v_cmp_ne_u32_e32 vcc_lo, 0, v8
	v_add_nc_u32_e32 v15, 0xfffffc10, v15
	v_mad_u64_u32 v[4:5], null, s17, v28, v[0:1]
	v_lshrrev_b32_e32 v11, v14, v29
	v_lshrrev_b32_e32 v0, 16, v1
	v_cndmask_b32_e64 v8, 0, 1, vcc_lo
	v_and_or_b32 v17, 0x8000, v18, v17
	v_lshlrev_b32_e32 v5, v14, v11
	s_waitcnt vmcnt(6)
	v_mul_f16_sdwa v13, v0, v54 dst_sel:DWORD dst_unused:UNUSED_PAD src0_sel:DWORD src1_sel:WORD_1
	v_bfe_u32 v14, v9, 20, 11
	v_and_or_b32 v8, 0xffe, v12, v8
	v_cmp_ne_u32_e32 vcc_lo, v5, v29
	v_fmac_f16_e32 v13, v1, v54
	v_sub_nc_u32_e32 v12, 0x3f1, v14
	v_or_b32_e32 v18, 0x1000, v8
	v_mul_f16_sdwa v1, v1, v54 dst_sel:DWORD dst_unused:UNUSED_PAD src0_sel:DWORD src1_sel:WORD_1
	v_cndmask_b32_e64 v5, 0, 1, vcc_lo
	v_cvt_f32_f16_e32 v13, v13
	v_med3_i32 v28, v12, 0, 13
	v_cmp_gt_i32_e32 vcc_lo, 1, v15
	v_fma_f16 v0, v54, v0, -v1
	v_or_b32_e32 v5, v11, v5
	v_lshl_or_b32 v11, v15, 12, v2
	v_cvt_f64_f32_e32 v[12:13], v13
	v_add_nc_u32_e32 v14, 0xfffffc10, v14
	v_cndmask_b32_e32 v29, v11, v5, vcc_lo
	v_and_b32_e32 v5, 0xffff, v16
	v_mov_b32_e32 v11, v4
	v_lshrrev_b32_e32 v16, v28, v18
	v_and_b32_e32 v30, 7, v29
	v_lshl_or_b32 v17, v17, 16, v5
	v_lshlrev_b64 v[4:5], 2, v[10:11]
	v_lshlrev_b32_e32 v10, v28, v16
	v_lshrrev_b32_e32 v11, 2, v29
	v_cmp_lt_i32_e32 vcc_lo, 5, v30
	v_cmp_eq_u32_e64 s0, 3, v30
	v_cmp_ne_u32_e64 s1, v10, v18
	s_or_b32 vcc_lo, s0, vcc_lo
	v_cndmask_b32_e64 v10, 0, 1, s1
	v_add_co_ci_u32_e32 v18, vcc_lo, 0, v11, vcc_lo
	v_cmp_ne_u32_e32 vcc_lo, 0, v2
	v_cmp_eq_u32_e64 s1, 0x40f, v15
	v_or_b32_e32 v16, v16, v10
	v_cvt_f32_f16_e32 v10, v0
	v_mul_f64 v[0:1], v[12:13], s[20:21]
	v_lshl_or_b32 v12, v14, 12, v8
	v_cndmask_b32_e64 v2, 0, 1, vcc_lo
	v_cmp_gt_i32_e32 vcc_lo, 1, v14
	v_cvt_f64_f32_e32 v[10:11], v10
	v_lshl_or_b32 v2, v2, 9, 0x7c00
	v_cndmask_b32_e32 v12, v12, v16, vcc_lo
	v_add_co_u32 v4, vcc_lo, v6, v4
	v_add_co_ci_u32_e32 v5, vcc_lo, v7, v5, vcc_lo
	v_cmp_gt_i32_e32 vcc_lo, 31, v15
	v_and_b32_e32 v13, 7, v12
	global_store_dword v[4:5], v17, off
	ds_read2st64_b32 v[4:5], v23 offset0:14 offset1:16
	v_cndmask_b32_e32 v16, 0x7c00, v18, vcc_lo
	v_cmp_lt_i32_e32 vcc_lo, 5, v13
	v_cmp_eq_u32_e64 s0, 3, v13
	v_and_or_b32 v0, 0x1ff, v1, v0
	v_cndmask_b32_e64 v13, v16, v2, s1
	v_lshrrev_b32_e32 v2, 2, v12
	s_or_b32 vcc_lo, s0, vcc_lo
	v_lshrrev_b32_e32 v12, 16, v3
	v_lshrrev_b32_e32 v16, 8, v1
	v_bfe_u32 v17, v1, 20, 11
	v_add_co_ci_u32_e32 v15, vcc_lo, 0, v2, vcc_lo
	v_mul_f64 v[2:3], v[10:11], s[20:21]
	v_cmp_ne_u32_e32 vcc_lo, 0, v0
	v_mad_u64_u32 v[10:11], null, s16, v27, 0
	v_and_or_b32 v18, 0x8000, v12, v13
	v_cndmask_b32_e64 v0, 0, 1, vcc_lo
	v_cmp_ne_u32_e32 vcc_lo, 0, v8
	v_and_or_b32 v16, 0xffe, v16, v0
	v_cndmask_b32_e64 v8, 0, 1, vcc_lo
	v_sub_nc_u32_e32 v0, 0x3f1, v17
	v_cmp_gt_i32_e32 vcc_lo, 31, v14
	v_add_nc_u32_e32 v17, 0xfffffc10, v17
	v_or_b32_e32 v12, 0x1000, v16
	v_lshl_or_b32 v8, v8, 9, 0x7c00
	v_med3_i32 v13, v0, 0, 13
	v_cndmask_b32_e32 v15, 0x7c00, v15, vcc_lo
	v_cmp_eq_u32_e32 vcc_lo, 0x40f, v14
	v_mov_b32_e32 v0, v11
	v_and_or_b32 v2, 0x1ff, v3, v2
	v_lshrrev_b32_e32 v11, 16, v9
	v_bfe_u32 v28, v3, 20, 11
	v_cndmask_b32_e32 v14, v15, v8, vcc_lo
	v_lshrrev_b32_e32 v15, v13, v12
	v_mad_u64_u32 v[8:9], null, s17, v27, v[0:1]
	v_cmp_ne_u32_e32 vcc_lo, 0, v2
	s_waitcnt lgkmcnt(0)
	v_lshrrev_b32_e32 v0, 16, v4
	v_lshlrev_b32_e32 v9, v13, v15
	v_lshrrev_b32_e32 v13, 8, v3
	v_and_or_b32 v14, 0x8000, v11, v14
	v_cndmask_b32_e64 v2, 0, 1, vcc_lo
	s_waitcnt vmcnt(5)
	v_mul_f16_sdwa v27, v0, v43 dst_sel:DWORD dst_unused:UNUSED_PAD src0_sel:DWORD src1_sel:WORD_1
	v_cmp_ne_u32_e32 vcc_lo, v9, v12
	v_sub_nc_u32_e32 v12, 0x3f1, v28
	v_mov_b32_e32 v11, v8
	v_and_or_b32 v2, 0xffe, v13, v2
	v_fmac_f16_e32 v27, v4, v43
	v_cndmask_b32_e64 v9, 0, 1, vcc_lo
	v_lshl_or_b32 v13, v17, 12, v16
	v_cmp_gt_i32_e32 vcc_lo, 1, v17
	v_med3_i32 v29, v12, 0, 13
	v_mul_f16_sdwa v4, v4, v43 dst_sel:DWORD dst_unused:UNUSED_PAD src0_sel:DWORD src1_sel:WORD_1
	v_or_b32_e32 v9, v15, v9
	v_cvt_f32_f16_e32 v15, v27
	v_or_b32_e32 v27, 0x1000, v2
	v_lshlrev_b64 v[10:11], 2, v[10:11]
	v_fma_f16 v0, v43, v0, -v4
	v_cndmask_b32_e32 v9, v13, v9, vcc_lo
	v_cvt_f64_f32_e32 v[12:13], v15
	v_and_b32_e32 v15, 0xffff, v18
	v_lshrrev_b32_e32 v18, v29, v27
	v_cvt_f32_f16_e32 v0, v0
	v_and_b32_e32 v30, 7, v9
	v_lshrrev_b32_e32 v9, 2, v9
	v_lshl_or_b32 v14, v14, 16, v15
	v_lshlrev_b32_e32 v8, v29, v18
	v_add_nc_u32_e32 v15, 0xfffffc10, v28
	v_cmp_lt_i32_e32 vcc_lo, 5, v30
	v_cmp_eq_u32_e64 s0, 3, v30
	v_lshrrev_b32_e32 v3, 16, v3
	v_cmp_ne_u32_e64 s1, v8, v27
	v_lshl_or_b32 v27, v15, 12, v2
	s_or_b32 vcc_lo, s0, vcc_lo
	v_add_co_ci_u32_e32 v4, vcc_lo, 0, v9, vcc_lo
	v_cndmask_b32_e64 v8, 0, 1, s1
	v_cmp_ne_u32_e32 vcc_lo, 0, v16
	v_cmp_eq_u32_e64 s1, 0x40f, v17
	v_or_b32_e32 v18, v18, v8
	v_mul_f64 v[8:9], v[12:13], s[20:21]
	v_cndmask_b32_e64 v16, 0, 1, vcc_lo
	v_cvt_f64_f32_e32 v[12:13], v0
	v_cmp_gt_i32_e32 vcc_lo, 1, v15
	v_lshl_or_b32 v16, v16, 9, 0x7c00
	v_cndmask_b32_e32 v0, v27, v18, vcc_lo
	v_cmp_gt_i32_e32 vcc_lo, 31, v17
	v_and_b32_e32 v18, 7, v0
	v_cndmask_b32_e32 v4, 0x7c00, v4, vcc_lo
	v_add_co_u32 v10, vcc_lo, v6, v10
	v_add_co_ci_u32_e32 v11, vcc_lo, v7, v11, vcc_lo
	v_cmp_lt_i32_e32 vcc_lo, 5, v18
	v_cmp_eq_u32_e64 s0, 3, v18
	v_lshrrev_b32_e32 v0, 2, v0
	v_cndmask_b32_e64 v4, v4, v16, s1
	v_lshrrev_b32_e32 v16, 16, v1
	v_and_or_b32 v8, 0x1ff, v9, v8
	s_or_b32 vcc_lo, s0, vcc_lo
	v_bfe_u32 v18, v9, 20, 11
	v_add_co_ci_u32_e32 v17, vcc_lo, 0, v0, vcc_lo
	v_mul_f64 v[0:1], v[12:13], s[20:21]
	v_cmp_ne_u32_e32 vcc_lo, 0, v8
	v_lshrrev_b32_e32 v12, 8, v9
	v_sub_nc_u32_e32 v27, 0x3f1, v18
	global_store_dword v[10:11], v14, off
	v_and_or_b32 v4, 0x8000, v16, v4
	v_cndmask_b32_e64 v8, 0, 1, vcc_lo
	v_cmp_ne_u32_e32 vcc_lo, 0, v2
	v_med3_i32 v27, v27, 0, 13
	v_lshrrev_b32_e32 v9, 16, v9
	v_and_or_b32 v8, 0xffe, v12, v8
	v_cndmask_b32_e64 v2, 0, 1, vcc_lo
	v_cmp_gt_i32_e32 vcc_lo, 31, v15
	v_mad_u64_u32 v[12:13], null, s16, v26, 0
	v_or_b32_e32 v28, 0x1000, v8
	v_lshl_or_b32 v2, v2, 9, 0x7c00
	v_cndmask_b32_e32 v17, 0x7c00, v17, vcc_lo
	v_cmp_eq_u32_e32 vcc_lo, 0x40f, v15
	v_lshrrev_b32_e32 v15, 16, v5
	v_lshrrev_b32_e32 v10, v27, v28
	v_and_or_b32 v11, 0x1ff, v1, v0
	v_mov_b32_e32 v0, v13
	v_cndmask_b32_e32 v2, v17, v2, vcc_lo
	v_lshrrev_b32_e32 v16, 8, v1
	v_lshlrev_b32_e32 v13, v27, v10
	v_cmp_ne_u32_e32 vcc_lo, 0, v11
	v_bfe_u32 v17, v1, 20, 11
	s_waitcnt vmcnt(4)
	v_mul_f16_sdwa v27, v15, v42 dst_sel:DWORD dst_unused:UNUSED_PAD src0_sel:DWORD src1_sel:WORD_1
	v_and_or_b32 v14, 0x8000, v3, v2
	v_mad_u64_u32 v[2:3], null, s17, v26, v[0:1]
	v_cndmask_b32_e64 v11, 0, 1, vcc_lo
	v_sub_nc_u32_e32 v3, 0x3f1, v17
	v_cmp_ne_u32_e32 vcc_lo, v13, v28
	v_fmac_f16_e32 v27, v5, v42
	v_and_b32_e32 v26, 0xffff, v4
	v_and_or_b32 v0, 0xffe, v16, v11
	v_add_nc_u32_e32 v16, 0xfffffc10, v18
	v_cndmask_b32_e64 v11, 0, 1, vcc_lo
	v_med3_i32 v13, v3, 0, 13
	v_cvt_f32_f16_e32 v3, v27
	v_or_b32_e32 v18, 0x1000, v0
	v_cmp_gt_i32_e32 vcc_lo, 1, v16
	v_or_b32_e32 v10, v10, v11
	v_lshl_or_b32 v11, v16, 12, v8
	v_cvt_f64_f32_e32 v[3:4], v3
	v_lshrrev_b32_e32 v27, v13, v18
	v_mul_f16_sdwa v5, v5, v42 dst_sel:DWORD dst_unused:UNUSED_PAD src0_sel:DWORD src1_sel:WORD_1
	v_add_nc_u32_e32 v17, 0xfffffc10, v17
	v_cndmask_b32_e32 v28, v11, v10, vcc_lo
	v_lshl_or_b32 v14, v14, 16, v26
	v_lshlrev_b32_e32 v10, v13, v27
	v_fma_f16 v5, v42, v15, -v5
	v_mov_b32_e32 v13, v2
	v_and_b32_e32 v2, 7, v28
	v_cmp_gt_i32_e64 s1, 1, v17
	v_cmp_ne_u32_e32 vcc_lo, v10, v18
	v_cvt_f32_f16_e32 v5, v5
	v_lshlrev_b64 v[10:11], 2, v[12:13]
	v_lshl_or_b32 v13, v17, 12, v0
	v_cmp_eq_u32_e64 s0, 3, v2
	v_cndmask_b32_e64 v18, 0, 1, vcc_lo
	v_cmp_lt_i32_e32 vcc_lo, 5, v2
	v_lshrrev_b32_e32 v15, 2, v28
	v_lshrrev_b32_e32 v1, 16, v1
	v_or_b32_e32 v12, v27, v18
	v_mul_f64 v[2:3], v[3:4], s[20:21]
	v_cvt_f64_f32_e32 v[4:5], v5
	s_or_b32 vcc_lo, s0, vcc_lo
	v_cndmask_b32_e64 v12, v13, v12, s1
	v_add_co_ci_u32_e32 v15, vcc_lo, 0, v15, vcc_lo
	v_cmp_ne_u32_e32 vcc_lo, 0, v8
	v_add_co_u32 v10, s1, v6, v10
	v_and_b32_e32 v13, 7, v12
	v_lshrrev_b32_e32 v12, 2, v12
	v_cndmask_b32_e64 v8, 0, 1, vcc_lo
	v_add_co_ci_u32_e64 v11, s1, v7, v11, s1
	v_cmp_lt_i32_e32 vcc_lo, 5, v13
	v_cmp_eq_u32_e64 s0, 3, v13
	v_cmp_gt_i32_e64 s1, 31, v16
	v_lshl_or_b32 v8, v8, 9, 0x7c00
	global_store_dword v[10:11], v14, off
	s_or_b32 vcc_lo, s0, vcc_lo
	v_cndmask_b32_e64 v13, 0x7c00, v15, s1
	v_add_co_ci_u32_e32 v12, vcc_lo, 0, v12, vcc_lo
	v_cmp_ne_u32_e32 vcc_lo, 0, v0
	v_mul_f64 v[4:5], v[4:5], s[20:21]
	v_and_or_b32 v2, 0x1ff, v3, v2
	v_bfe_u32 v18, v3, 20, 11
	v_cndmask_b32_e64 v0, 0, 1, vcc_lo
	v_cmp_eq_u32_e32 vcc_lo, 0x40f, v16
	v_lshrrev_b32_e32 v16, 8, v3
	v_lshl_or_b32 v0, v0, 9, 0x7c00
	v_cndmask_b32_e32 v8, v13, v8, vcc_lo
	v_cmp_gt_i32_e32 vcc_lo, 31, v17
	v_and_or_b32 v10, 0x8000, v9, v8
	v_cndmask_b32_e32 v15, 0x7c00, v12, vcc_lo
	ds_read2st64_b32 v[12:13], v23 offset0:18 offset1:20
	v_cmp_ne_u32_e32 vcc_lo, 0, v2
	v_and_b32_e32 v10, 0xffff, v10
	v_and_or_b32 v4, 0x1ff, v5, v4
	v_cndmask_b32_e64 v2, 0, 1, vcc_lo
	v_cmp_eq_u32_e32 vcc_lo, 0x40f, v17
	v_lshrrev_b32_e32 v9, 8, v5
	v_bfe_u32 v17, v5, 20, 11
	v_lshrrev_b32_e32 v5, 16, v5
	v_cndmask_b32_e32 v0, v15, v0, vcc_lo
	v_and_or_b32 v15, 0xffe, v16, v2
	v_sub_nc_u32_e32 v2, 0x3f1, v18
	v_cmp_ne_u32_e32 vcc_lo, 0, v4
	v_add_nc_u32_e32 v18, 0xfffffc10, v18
	v_and_or_b32 v11, 0x8000, v1, v0
	v_or_b32_e32 v8, 0x1000, v15
	v_med3_i32 v2, v2, 0, 13
	s_waitcnt lgkmcnt(0)
	v_lshrrev_b32_e32 v16, 16, v12
	v_cndmask_b32_e64 v4, 0, 1, vcc_lo
	v_mad_u64_u32 v[0:1], null, s16, v25, 0
	v_lshrrev_b32_e32 v14, v2, v8
	s_waitcnt vmcnt(3)
	v_mul_f16_sdwa v26, v16, v39 dst_sel:DWORD dst_unused:UNUSED_PAD src0_sel:DWORD src1_sel:WORD_1
	v_and_or_b32 v4, 0xffe, v9, v4
	v_sub_nc_u32_e32 v9, 0x3f1, v17
	v_add_nc_u32_e32 v17, 0xfffffc10, v17
	v_lshlrev_b32_e32 v27, v2, v14
	v_mad_u64_u32 v[1:2], null, s17, v25, v[1:2]
	v_fmac_f16_e32 v26, v12, v39
	v_or_b32_e32 v2, 0x1000, v4
	v_med3_i32 v25, v9, 0, 13
	v_cmp_ne_u32_e32 vcc_lo, v27, v8
	v_cmp_gt_i32_e64 s1, 1, v17
	v_cvt_f32_f16_e32 v9, v26
	v_lshlrev_b64 v[0:1], 2, v[0:1]
	v_lshrrev_b32_e32 v27, v25, v2
	v_cndmask_b32_e64 v26, 0, 1, vcc_lo
	v_cmp_gt_i32_e32 vcc_lo, 1, v18
	v_cvt_f64_f32_e32 v[8:9], v9
	v_lshlrev_b32_e32 v25, v25, v27
	v_or_b32_e32 v14, v14, v26
	v_lshl_or_b32 v26, v18, 12, v15
	v_cndmask_b32_e32 v14, v26, v14, vcc_lo
	v_cmp_ne_u32_e32 vcc_lo, v25, v2
	v_lshl_or_b32 v26, v11, 16, v10
	v_mul_f16_sdwa v11, v12, v39 dst_sel:DWORD dst_unused:UNUSED_PAD src0_sel:DWORD src1_sel:WORD_1
	v_lshl_or_b32 v12, v17, 12, v4
	v_and_b32_e32 v10, 7, v14
	v_cndmask_b32_e64 v2, 0, 1, vcc_lo
	v_fma_f16 v11, v39, v16, -v11
	v_cmp_lt_i32_e32 vcc_lo, 5, v10
	v_or_b32_e32 v2, v27, v2
	v_cmp_eq_u32_e64 s0, 3, v10
	v_cvt_f32_f16_e32 v10, v11
	v_mul_f64 v[8:9], v[8:9], s[20:21]
	v_cndmask_b32_e64 v2, v12, v2, s1
	v_lshrrev_b32_e32 v12, 2, v14
	s_or_b32 vcc_lo, s0, vcc_lo
	v_cvt_f64_f32_e32 v[10:11], v10
	v_add_co_u32 v0, s1, v6, v0
	v_add_co_ci_u32_e32 v12, vcc_lo, 0, v12, vcc_lo
	v_and_b32_e32 v14, 7, v2
	v_cmp_ne_u32_e32 vcc_lo, 0, v15
	v_add_co_ci_u32_e64 v1, s1, v7, v1, s1
	v_lshrrev_b32_e32 v2, 2, v2
	v_cmp_eq_u32_e64 s0, 3, v14
	v_cndmask_b32_e64 v15, 0, 1, vcc_lo
	v_cmp_lt_i32_e32 vcc_lo, 5, v14
	v_cmp_gt_i32_e64 s1, 31, v18
	global_store_dword v[0:1], v26, off
	v_lshl_or_b32 v14, v15, 9, 0x7c00
	s_or_b32 vcc_lo, s0, vcc_lo
	v_cndmask_b32_e64 v12, 0x7c00, v12, s1
	v_add_co_ci_u32_e32 v2, vcc_lo, 0, v2, vcc_lo
	v_cmp_eq_u32_e32 vcc_lo, 0x40f, v18
	v_and_or_b32 v8, 0x1ff, v9, v8
	v_lshrrev_b32_e32 v16, 8, v9
	v_bfe_u32 v18, v9, 20, 11
	v_cndmask_b32_e32 v12, v12, v14, vcc_lo
	v_cmp_gt_i32_e32 vcc_lo, 31, v17
	v_lshrrev_b32_e32 v14, 16, v3
	v_cndmask_b32_e32 v15, 0x7c00, v2, vcc_lo
	v_cmp_ne_u32_e32 vcc_lo, 0, v4
	v_mul_f64 v[2:3], v[10:11], s[20:21]
	v_mad_u64_u32 v[10:11], null, s16, v24, 0
	v_and_or_b32 v12, 0x8000, v14, v12
	v_cndmask_b32_e64 v4, 0, 1, vcc_lo
	v_cmp_ne_u32_e32 vcc_lo, 0, v8
	v_lshrrev_b32_e32 v14, 16, v13
	v_lshl_or_b32 v4, v4, 9, 0x7c00
	v_cndmask_b32_e64 v8, 0, 1, vcc_lo
	v_cmp_eq_u32_e32 vcc_lo, 0x40f, v17
	v_mov_b32_e32 v0, v11
	v_and_or_b32 v8, 0xffe, v16, v8
	v_sub_nc_u32_e32 v16, 0x3f1, v18
	v_cndmask_b32_e32 v4, v15, v4, vcc_lo
	v_mad_u64_u32 v[0:1], null, s17, v24, v[0:1]
	v_or_b32_e32 v15, 0x1000, v8
	v_med3_i32 v16, v16, 0, 13
	v_and_or_b32 v4, 0x8000, v5, v4
	v_and_or_b32 v2, 0x1ff, v3, v2
	v_lshrrev_b32_e32 v11, 8, v3
	v_bfe_u32 v17, v3, 20, 11
	v_lshrrev_b32_e32 v5, v16, v15
	v_cmp_ne_u32_e32 vcc_lo, 0, v2
	v_lshlrev_b32_e32 v1, v16, v5
	s_waitcnt vmcnt(2)
	v_mul_f16_sdwa v16, v14, v37 dst_sel:DWORD dst_unused:UNUSED_PAD src0_sel:DWORD src1_sel:WORD_1
	v_cndmask_b32_e64 v2, 0, 1, vcc_lo
	v_cmp_ne_u32_e32 vcc_lo, v1, v15
	v_add_nc_u32_e32 v15, 0xfffffc10, v18
	v_fmac_f16_e32 v16, v13, v37
	v_and_or_b32 v18, 0xffe, v11, v2
	v_sub_nc_u32_e32 v2, 0x3f1, v17
	v_cndmask_b32_e64 v1, 0, 1, vcc_lo
	v_cmp_gt_i32_e32 vcc_lo, 1, v15
	v_cvt_f32_f16_e32 v11, v16
	v_or_b32_e32 v16, 0x1000, v18
	v_med3_i32 v24, v2, 0, 13
	v_or_b32_e32 v1, v5, v1
	v_lshl_or_b32 v5, v15, 12, v8
	v_cndmask_b32_e32 v25, v5, v1, vcc_lo
	v_cvt_f64_f32_e32 v[1:2], v11
	v_and_b32_e32 v5, 0xffff, v12
	v_mov_b32_e32 v11, v0
	v_lshrrev_b32_e32 v0, v24, v16
	v_and_b32_e32 v12, 7, v25
	v_lshl_or_b32 v26, v4, 16, v5
	v_lshlrev_b64 v[4:5], 2, v[10:11]
	v_lshlrev_b32_e32 v10, v24, v0
	v_mul_f16_sdwa v11, v13, v37 dst_sel:DWORD dst_unused:UNUSED_PAD src0_sel:DWORD src1_sel:WORD_1
	v_cmp_lt_i32_e32 vcc_lo, 5, v12
	v_cmp_eq_u32_e64 s0, 3, v12
	v_lshrrev_b32_e32 v12, 2, v25
	v_cmp_ne_u32_e64 s1, v10, v16
	v_fma_f16 v11, v37, v14, -v11
	v_add_nc_u32_e32 v13, 0xfffffc10, v17
	s_or_b32 vcc_lo, s0, vcc_lo
	v_cndmask_b32_e64 v10, 0, 1, s1
	v_add_co_ci_u32_e32 v12, vcc_lo, 0, v12, vcc_lo
	v_cmp_ne_u32_e32 vcc_lo, 0, v8
	v_cmp_eq_u32_e64 s1, 0x40f, v15
	v_or_b32_e32 v14, v0, v10
	v_cvt_f32_f16_e32 v10, v11
	v_mul_f64 v[0:1], v[1:2], s[20:21]
	v_lshl_or_b32 v2, v13, 12, v18
	v_cndmask_b32_e64 v8, 0, 1, vcc_lo
	v_cmp_gt_i32_e32 vcc_lo, 1, v13
	v_cvt_f64_f32_e32 v[10:11], v10
	v_lshl_or_b32 v8, v8, 9, 0x7c00
	v_cndmask_b32_e32 v2, v2, v14, vcc_lo
	v_add_co_u32 v4, vcc_lo, v6, v4
	v_add_co_ci_u32_e32 v5, vcc_lo, v7, v5, vcc_lo
	v_and_b32_e32 v14, 7, v2
	v_cmp_gt_i32_e32 vcc_lo, 31, v15
	v_lshrrev_b32_e32 v2, 2, v2
	global_store_dword v[4:5], v26, off
	v_cmp_eq_u32_e64 s0, 3, v14
	v_cndmask_b32_e32 v12, 0x7c00, v12, vcc_lo
	v_cmp_lt_i32_e32 vcc_lo, 5, v14
	v_lshrrev_b32_e32 v14, 16, v9
	v_and_or_b32 v0, 0x1ff, v1, v0
	v_lshrrev_b32_e32 v16, 8, v1
	v_bfe_u32 v17, v1, 20, 11
	s_or_b32 vcc_lo, s0, vcc_lo
	v_mul_f64 v[4:5], v[10:11], s[20:21]
	v_add_co_ci_u32_e32 v2, vcc_lo, 0, v2, vcc_lo
	v_cmp_ne_u32_e32 vcc_lo, 0, v18
	ds_read2st64_b32 v[10:11], v23 offset0:22 offset1:24
	v_cndmask_b32_e64 v12, v12, v8, s1
	v_mad_u64_u32 v[8:9], null, s16, v22, 0
	v_cndmask_b32_e64 v15, 0, 1, vcc_lo
	v_cmp_ne_u32_e32 vcc_lo, 0, v0
	v_and_or_b32 v12, 0x8000, v14, v12
	v_lshrrev_b32_e32 v14, 16, v3
	v_lshl_or_b32 v15, v15, 9, 0x7c00
	v_cndmask_b32_e64 v0, 0, 1, vcc_lo
	v_cmp_gt_i32_e32 vcc_lo, 31, v13
	v_and_b32_e32 v12, 0xffff, v12
	v_and_or_b32 v16, 0xffe, v16, v0
	v_sub_nc_u32_e32 v0, 0x3f1, v17
	v_cndmask_b32_e32 v2, 0x7c00, v2, vcc_lo
	v_cmp_eq_u32_e32 vcc_lo, 0x40f, v13
	v_and_or_b32 v4, 0x1ff, v5, v4
	v_or_b32_e32 v18, 0x1000, v16
	v_med3_i32 v23, v0, 0, 13
	v_mov_b32_e32 v0, v9
	v_cndmask_b32_e32 v13, v2, v15, vcc_lo
	v_cmp_ne_u32_e32 vcc_lo, 0, v4
	v_lshrrev_b32_e32 v15, 8, v5
	v_lshrrev_b32_e32 v9, v23, v18
	v_mad_u64_u32 v[2:3], null, s17, v22, v[0:1]
	v_cndmask_b32_e64 v3, 0, 1, vcc_lo
	v_bfe_u32 v22, v5, 20, 11
	v_lshlrev_b32_e32 v0, v23, v9
	s_waitcnt lgkmcnt(0)
	v_lshrrev_b32_e32 v4, 16, v10
	v_add_nc_u32_e32 v17, 0xfffffc10, v17
	v_and_or_b32 v15, 0xffe, v15, v3
	v_sub_nc_u32_e32 v3, 0x3f1, v22
	v_cmp_ne_u32_e32 vcc_lo, v0, v18
	s_waitcnt vmcnt(1)
	v_mul_f16_sdwa v18, v4, v35 dst_sel:DWORD dst_unused:UNUSED_PAD src0_sel:DWORD src1_sel:WORD_1
	v_and_or_b32 v13, 0x8000, v14, v13
	v_or_b32_e32 v23, 0x1000, v15
	v_med3_i32 v24, v3, 0, 13
	v_cndmask_b32_e64 v0, 0, 1, vcc_lo
	v_fmac_f16_e32 v18, v10, v35
	v_cmp_gt_i32_e32 vcc_lo, 1, v17
	v_lshl_or_b32 v25, v13, 16, v12
	v_lshrrev_b32_e32 v14, v24, v23
	v_or_b32_e32 v0, v9, v0
	v_lshl_or_b32 v9, v17, 12, v16
	v_cvt_f32_f16_e32 v3, v18
	v_add_nc_u32_e32 v22, 0xfffffc10, v22
	v_lshlrev_b32_e32 v24, v24, v14
	v_mul_f16_sdwa v10, v10, v35 dst_sel:DWORD dst_unused:UNUSED_PAD src0_sel:DWORD src1_sel:WORD_1
	v_cndmask_b32_e32 v0, v9, v0, vcc_lo
	v_mov_b32_e32 v9, v2
	v_cvt_f64_f32_e32 v[2:3], v3
	v_cmp_ne_u32_e64 s0, v24, v23
	v_lshl_or_b32 v13, v22, 12, v15
	v_and_b32_e32 v18, 7, v0
	v_lshrrev_b32_e32 v0, 2, v0
	v_fma_f16 v4, v35, v4, -v10
	v_cndmask_b32_e64 v12, 0, 1, s0
	v_lshlrev_b64 v[8:9], 2, v[8:9]
	v_cmp_lt_i32_e32 vcc_lo, 5, v18
	v_cmp_eq_u32_e64 s0, 3, v18
	v_cvt_f32_f16_e32 v4, v4
	v_or_b32_e32 v12, v14, v12
	v_lshrrev_b32_e32 v18, 16, v11
	v_add_co_u32 v8, s1, v6, v8
	s_or_b32 vcc_lo, s0, vcc_lo
	v_add_co_ci_u32_e64 v9, s1, v7, v9, s1
	v_add_co_ci_u32_e32 v0, vcc_lo, 0, v0, vcc_lo
	v_cmp_gt_i32_e32 vcc_lo, 1, v22
	v_cmp_eq_u32_e64 s1, 0x40f, v17
	v_mul_f64 v[2:3], v[2:3], s[20:21]
	v_lshrrev_b32_e32 v5, 16, v5
	v_cndmask_b32_e32 v10, v13, v12, vcc_lo
	v_cmp_ne_u32_e32 vcc_lo, 0, v16
	v_cvt_f64_f32_e32 v[12:13], v4
	v_and_b32_e32 v16, 7, v10
	v_cndmask_b32_e64 v14, 0, 1, vcc_lo
	v_cmp_gt_i32_e32 vcc_lo, 31, v17
	v_lshrrev_b32_e32 v10, 2, v10
	v_cmp_eq_u32_e64 s0, 3, v16
	v_lshl_or_b32 v4, v14, 9, 0x7c00
	v_cndmask_b32_e32 v0, 0x7c00, v0, vcc_lo
	v_cmp_lt_i32_e32 vcc_lo, 5, v16
	v_lshrrev_b32_e32 v14, 16, v1
	v_cndmask_b32_e64 v4, v0, v4, s1
	s_or_b32 vcc_lo, s0, vcc_lo
	v_and_or_b32 v2, 0x1ff, v3, v2
	v_add_co_ci_u32_e32 v0, vcc_lo, 0, v10, vcc_lo
	v_cmp_ne_u32_e32 vcc_lo, 0, v15
	v_lshrrev_b32_e32 v16, 8, v3
	v_bfe_u32 v17, v3, 20, 11
	v_and_or_b32 v14, 0x8000, v14, v4
	v_cndmask_b32_e64 v10, 0, 1, vcc_lo
	v_cmp_gt_i32_e32 vcc_lo, 31, v22
	v_lshl_or_b32 v10, v10, 9, 0x7c00
	v_cndmask_b32_e32 v15, 0x7c00, v0, vcc_lo
	v_mul_f64 v[0:1], v[12:13], s[20:21]
	v_cmp_ne_u32_e32 vcc_lo, 0, v2
	v_mad_u64_u32 v[12:13], null, s16, v21, 0
	v_cndmask_b32_e64 v2, 0, 1, vcc_lo
	v_cmp_eq_u32_e32 vcc_lo, 0x40f, v22
	v_and_or_b32 v16, 0xffe, v16, v2
	v_sub_nc_u32_e32 v2, 0x3f1, v17
	v_cndmask_b32_e32 v10, v15, v10, vcc_lo
	s_waitcnt vmcnt(0)
	v_mul_f16_sdwa v15, v18, v33 dst_sel:DWORD dst_unused:UNUSED_PAD src0_sel:DWORD src1_sel:WORD_1
	v_add_nc_u32_e32 v17, 0xfffffc10, v17
	v_or_b32_e32 v22, 0x1000, v16
	v_med3_i32 v23, v2, 0, 13
	v_mov_b32_e32 v2, v13
	v_fmac_f16_e32 v15, v11, v33
	v_and_or_b32 v10, 0x8000, v5, v10
	v_mul_f16_sdwa v11, v11, v33 dst_sel:DWORD dst_unused:UNUSED_PAD src0_sel:DWORD src1_sel:WORD_1
	v_lshrrev_b32_e32 v13, v23, v22
	v_and_or_b32 v0, 0x1ff, v1, v0
	v_mad_u64_u32 v[4:5], null, s17, v21, v[2:3]
	v_cvt_f32_f16_e32 v2, v15
	v_lshlrev_b32_e32 v21, v23, v13
	v_cmp_ne_u32_e32 vcc_lo, 0, v0
	v_and_b32_e32 v5, 0xffff, v14
	v_bfe_u32 v23, v1, 20, 11
	v_cvt_f64_f32_e32 v[14:15], v2
	v_lshrrev_b32_e32 v2, 8, v1
	v_cndmask_b32_e64 v0, 0, 1, vcc_lo
	v_cmp_ne_u32_e32 vcc_lo, v21, v22
	v_fma_f16 v11, v33, v18, -v11
	v_lshl_or_b32 v24, v10, 16, v5
	v_and_or_b32 v0, 0xffe, v2, v0
	v_cndmask_b32_e64 v21, 0, 1, vcc_lo
	v_cmp_gt_i32_e32 vcc_lo, 1, v17
	v_sub_nc_u32_e32 v2, 0x3f1, v23
	v_cvt_f32_f16_e32 v11, v11
	v_or_b32_e32 v18, 0x1000, v0
	v_or_b32_e32 v13, v13, v21
	v_lshl_or_b32 v21, v17, 12, v16
	v_med3_i32 v2, v2, 0, 13
	v_cndmask_b32_e32 v21, v21, v13, vcc_lo
	v_mov_b32_e32 v13, v4
	v_cvt_f64_f32_e32 v[4:5], v11
	v_lshrrev_b32_e32 v22, v2, v18
	v_mul_f64 v[10:11], v[14:15], s[20:21]
	v_and_b32_e32 v26, 7, v21
	v_lshrrev_b32_e32 v14, 2, v21
	v_add_nc_u32_e32 v15, 0xfffffc10, v23
	v_lshlrev_b32_e32 v2, v2, v22
	v_lshlrev_b64 v[12:13], 2, v[12:13]
	v_cmp_lt_i32_e32 vcc_lo, 5, v26
	v_cmp_eq_u32_e64 s0, 3, v26
	v_cmp_ne_u32_e64 s1, v2, v18
	v_lshl_or_b32 v18, v15, 12, v0
	s_or_b32 vcc_lo, s0, vcc_lo
	v_add_co_ci_u32_e32 v14, vcc_lo, 0, v14, vcc_lo
	v_cmp_ne_u32_e32 vcc_lo, 0, v16
	v_cndmask_b32_e64 v2, 0, 1, s1
	v_mul_f64 v[4:5], v[4:5], s[20:21]
	v_cndmask_b32_e64 v16, 0, 1, vcc_lo
	v_cmp_gt_i32_e32 vcc_lo, 31, v17
	v_or_b32_e32 v2, v22, v2
	v_lshrrev_b32_e32 v21, 8, v11
	v_bfe_u32 v22, v11, 20, 11
	v_lshl_or_b32 v16, v16, 9, 0x7c00
	v_cndmask_b32_e32 v14, 0x7c00, v14, vcc_lo
	v_cmp_gt_i32_e32 vcc_lo, 1, v15
	v_cndmask_b32_e32 v18, v18, v2, vcc_lo
	v_and_or_b32 v2, 0x1ff, v11, v10
	v_cmp_eq_u32_e32 vcc_lo, 0x40f, v17
	v_lshrrev_b32_e32 v11, 16, v11
	v_cndmask_b32_e32 v10, v14, v16, vcc_lo
	v_cmp_ne_u32_e32 vcc_lo, 0, v2
	v_and_b32_e32 v16, 7, v18
	v_lshrrev_b32_e32 v14, 16, v3
	v_and_or_b32 v4, 0x1ff, v5, v4
	v_cndmask_b32_e64 v17, 0, 1, vcc_lo
	v_add_co_u32 v2, vcc_lo, v6, v12
	v_add_co_ci_u32_e32 v3, vcc_lo, v7, v13, vcc_lo
	v_cmp_lt_i32_e32 vcc_lo, 5, v16
	v_cmp_eq_u32_e64 s0, 3, v16
	v_lshrrev_b32_e32 v13, 2, v18
	v_and_or_b32 v10, 0x8000, v14, v10
	v_and_or_b32 v14, 0xffe, v21, v17
	v_sub_nc_u32_e32 v12, 0x3f1, v22
	s_or_b32 vcc_lo, s0, vcc_lo
	v_lshrrev_b32_e32 v18, 8, v5
	v_add_co_ci_u32_e32 v13, vcc_lo, 0, v13, vcc_lo
	v_or_b32_e32 v16, 0x1000, v14
	v_med3_i32 v12, v12, 0, 13
	v_cmp_ne_u32_e32 vcc_lo, 0, v4
	v_bfe_u32 v21, v5, 20, 11
	v_add_nc_u32_e32 v22, 0xfffffc10, v22
	v_and_b32_e32 v10, 0xffff, v10
	v_lshrrev_b32_e32 v17, v12, v16
	v_cndmask_b32_e64 v4, 0, 1, vcc_lo
	v_cmp_ne_u32_e32 vcc_lo, 0, v0
	v_lshlrev_b32_e32 v12, v12, v17
	v_and_or_b32 v4, 0xffe, v18, v4
	v_cndmask_b32_e64 v0, 0, 1, vcc_lo
	v_sub_nc_u32_e32 v18, 0x3f1, v21
	v_cmp_gt_i32_e32 vcc_lo, 31, v15
	v_or_b32_e32 v26, 0x1000, v4
	v_lshl_or_b32 v0, v0, 9, 0x7c00
	v_med3_i32 v18, v18, 0, 13
	v_cndmask_b32_e32 v23, 0x7c00, v13, vcc_lo
	v_cmp_ne_u32_e32 vcc_lo, v12, v16
	v_mad_u64_u32 v[12:13], null, s16, v20, 0
	v_lshrrev_b32_e32 v27, v18, v26
	v_cndmask_b32_e64 v16, 0, 1, vcc_lo
	v_cmp_eq_u32_e32 vcc_lo, 0x40f, v15
	v_lshlrev_b32_e32 v18, v18, v27
	v_or_b32_e32 v16, v17, v16
	v_lshl_or_b32 v17, v22, 12, v14
	v_cndmask_b32_e32 v15, v23, v0, vcc_lo
	v_cmp_gt_i32_e32 vcc_lo, 1, v22
	v_mov_b32_e32 v0, v13
	v_lshrrev_b32_e32 v23, 16, v1
	v_cndmask_b32_e32 v16, v17, v16, vcc_lo
	v_cmp_ne_u32_e32 vcc_lo, v18, v26
	v_add_nc_u32_e32 v17, 0xfffffc10, v21
	v_mad_u64_u32 v[0:1], null, s17, v20, v[0:1]
	v_and_b32_e32 v18, 7, v16
	v_cndmask_b32_e64 v13, 0, 1, vcc_lo
	v_cmp_gt_i32_e64 s1, 1, v17
	v_lshrrev_b32_e32 v16, 2, v16
	v_cmp_lt_i32_e32 vcc_lo, 5, v18
	v_or_b32_e32 v1, v27, v13
	v_lshl_or_b32 v13, v17, 12, v4
	v_cmp_eq_u32_e64 s0, 3, v18
	v_and_or_b32 v18, 0x8000, v23, v15
	v_cndmask_b32_e64 v1, v13, v1, s1
	s_or_b32 vcc_lo, s0, vcc_lo
	v_cmp_ne_u32_e64 s1, 0, v14
	v_add_co_ci_u32_e32 v15, vcc_lo, 0, v16, vcc_lo
	v_and_b32_e32 v16, 7, v1
	v_cmp_gt_i32_e32 vcc_lo, 31, v22
	v_mov_b32_e32 v13, v0
	v_cndmask_b32_e64 v14, 0, 1, s1
	v_lshl_or_b32 v10, v18, 16, v10
	v_cmp_eq_u32_e64 s0, 3, v16
	v_cndmask_b32_e32 v20, 0x7c00, v15, vcc_lo
	v_cmp_lt_i32_e32 vcc_lo, 5, v16
	v_lshrrev_b32_e32 v15, 2, v1
	v_mad_u64_u32 v[0:1], null, s16, v19, 0
	v_lshl_or_b32 v16, v14, 9, 0x7c00
	s_or_b32 vcc_lo, s0, vcc_lo
	v_add_co_ci_u32_e32 v15, vcc_lo, 0, v15, vcc_lo
	v_cmp_ne_u32_e32 vcc_lo, 0, v4
	v_cndmask_b32_e64 v4, 0, 1, vcc_lo
	v_cmp_gt_i32_e32 vcc_lo, 31, v17
	v_lshl_or_b32 v4, v4, 9, 0x7c00
	v_cndmask_b32_e32 v21, 0x7c00, v15, vcc_lo
	v_cmp_eq_u32_e32 vcc_lo, 0x40f, v22
	v_mad_u64_u32 v[14:15], null, s17, v19, v[1:2]
	v_cndmask_b32_e32 v1, v20, v16, vcc_lo
	v_cmp_eq_u32_e32 vcc_lo, 0x40f, v17
	v_lshrrev_b32_e32 v16, 16, v5
	v_and_or_b32 v11, 0x8000, v11, v1
	v_mov_b32_e32 v1, v14
	v_cndmask_b32_e32 v15, v21, v4, vcc_lo
	v_lshlrev_b64 v[4:5], 2, v[12:13]
	v_and_b32_e32 v11, 0xffff, v11
	v_lshlrev_b64 v[0:1], 2, v[0:1]
	v_and_or_b32 v12, 0x8000, v16, v15
	v_add_co_u32 v4, vcc_lo, v6, v4
	v_add_co_ci_u32_e32 v5, vcc_lo, v7, v5, vcc_lo
	v_add_co_u32 v0, vcc_lo, v6, v0
	v_lshl_or_b32 v11, v12, 16, v11
	v_add_co_ci_u32_e32 v1, vcc_lo, v7, v1, vcc_lo
	global_store_dword v[8:9], v25, off
	global_store_dword v[2:3], v24, off
	;; [unrolled: 1-line block ×4, first 2 shown]
.LBB0_15:
	s_endpgm
	.section	.rodata,"a",@progbits
	.p2align	6, 0x0
	.amdhsa_kernel bluestein_single_back_len1664_dim1_half_op_CI_CI
		.amdhsa_group_segment_fixed_size 6656
		.amdhsa_private_segment_fixed_size 0
		.amdhsa_kernarg_size 104
		.amdhsa_user_sgpr_count 6
		.amdhsa_user_sgpr_private_segment_buffer 1
		.amdhsa_user_sgpr_dispatch_ptr 0
		.amdhsa_user_sgpr_queue_ptr 0
		.amdhsa_user_sgpr_kernarg_segment_ptr 1
		.amdhsa_user_sgpr_dispatch_id 0
		.amdhsa_user_sgpr_flat_scratch_init 0
		.amdhsa_user_sgpr_private_segment_size 0
		.amdhsa_wavefront_size32 1
		.amdhsa_uses_dynamic_stack 0
		.amdhsa_system_sgpr_private_segment_wavefront_offset 0
		.amdhsa_system_sgpr_workgroup_id_x 1
		.amdhsa_system_sgpr_workgroup_id_y 0
		.amdhsa_system_sgpr_workgroup_id_z 0
		.amdhsa_system_sgpr_workgroup_info 0
		.amdhsa_system_vgpr_workitem_id 0
		.amdhsa_next_free_vgpr 166
		.amdhsa_next_free_sgpr 22
		.amdhsa_reserve_vcc 1
		.amdhsa_reserve_flat_scratch 0
		.amdhsa_float_round_mode_32 0
		.amdhsa_float_round_mode_16_64 0
		.amdhsa_float_denorm_mode_32 3
		.amdhsa_float_denorm_mode_16_64 3
		.amdhsa_dx10_clamp 1
		.amdhsa_ieee_mode 1
		.amdhsa_fp16_overflow 0
		.amdhsa_workgroup_processor_mode 1
		.amdhsa_memory_ordered 1
		.amdhsa_forward_progress 0
		.amdhsa_shared_vgpr_count 0
		.amdhsa_exception_fp_ieee_invalid_op 0
		.amdhsa_exception_fp_denorm_src 0
		.amdhsa_exception_fp_ieee_div_zero 0
		.amdhsa_exception_fp_ieee_overflow 0
		.amdhsa_exception_fp_ieee_underflow 0
		.amdhsa_exception_fp_ieee_inexact 0
		.amdhsa_exception_int_div_zero 0
	.end_amdhsa_kernel
	.text
.Lfunc_end0:
	.size	bluestein_single_back_len1664_dim1_half_op_CI_CI, .Lfunc_end0-bluestein_single_back_len1664_dim1_half_op_CI_CI
                                        ; -- End function
	.section	.AMDGPU.csdata,"",@progbits
; Kernel info:
; codeLenInByte = 22940
; NumSgprs: 24
; NumVgprs: 166
; ScratchSize: 0
; MemoryBound: 0
; FloatMode: 240
; IeeeMode: 1
; LDSByteSize: 6656 bytes/workgroup (compile time only)
; SGPRBlocks: 2
; VGPRBlocks: 20
; NumSGPRsForWavesPerEU: 24
; NumVGPRsForWavesPerEU: 166
; Occupancy: 5
; WaveLimiterHint : 1
; COMPUTE_PGM_RSRC2:SCRATCH_EN: 0
; COMPUTE_PGM_RSRC2:USER_SGPR: 6
; COMPUTE_PGM_RSRC2:TRAP_HANDLER: 0
; COMPUTE_PGM_RSRC2:TGID_X_EN: 1
; COMPUTE_PGM_RSRC2:TGID_Y_EN: 0
; COMPUTE_PGM_RSRC2:TGID_Z_EN: 0
; COMPUTE_PGM_RSRC2:TIDIG_COMP_CNT: 0
	.text
	.p2alignl 6, 3214868480
	.fill 48, 4, 3214868480
	.type	__hip_cuid_53489b44c8ba5b89,@object ; @__hip_cuid_53489b44c8ba5b89
	.section	.bss,"aw",@nobits
	.globl	__hip_cuid_53489b44c8ba5b89
__hip_cuid_53489b44c8ba5b89:
	.byte	0                               ; 0x0
	.size	__hip_cuid_53489b44c8ba5b89, 1

	.ident	"AMD clang version 19.0.0git (https://github.com/RadeonOpenCompute/llvm-project roc-6.4.0 25133 c7fe45cf4b819c5991fe208aaa96edf142730f1d)"
	.section	".note.GNU-stack","",@progbits
	.addrsig
	.addrsig_sym __hip_cuid_53489b44c8ba5b89
	.amdgpu_metadata
---
amdhsa.kernels:
  - .args:
      - .actual_access:  read_only
        .address_space:  global
        .offset:         0
        .size:           8
        .value_kind:     global_buffer
      - .actual_access:  read_only
        .address_space:  global
        .offset:         8
        .size:           8
        .value_kind:     global_buffer
      - .actual_access:  read_only
        .address_space:  global
        .offset:         16
        .size:           8
        .value_kind:     global_buffer
      - .actual_access:  read_only
        .address_space:  global
        .offset:         24
        .size:           8
        .value_kind:     global_buffer
      - .actual_access:  read_only
        .address_space:  global
        .offset:         32
        .size:           8
        .value_kind:     global_buffer
      - .offset:         40
        .size:           8
        .value_kind:     by_value
      - .address_space:  global
        .offset:         48
        .size:           8
        .value_kind:     global_buffer
      - .address_space:  global
        .offset:         56
        .size:           8
        .value_kind:     global_buffer
      - .address_space:  global
        .offset:         64
        .size:           8
        .value_kind:     global_buffer
      - .address_space:  global
        .offset:         72
        .size:           8
        .value_kind:     global_buffer
      - .offset:         80
        .size:           4
        .value_kind:     by_value
      - .address_space:  global
        .offset:         88
        .size:           8
        .value_kind:     global_buffer
      - .address_space:  global
        .offset:         96
        .size:           8
        .value_kind:     global_buffer
    .group_segment_fixed_size: 6656
    .kernarg_segment_align: 8
    .kernarg_segment_size: 104
    .language:       OpenCL C
    .language_version:
      - 2
      - 0
    .max_flat_workgroup_size: 208
    .name:           bluestein_single_back_len1664_dim1_half_op_CI_CI
    .private_segment_fixed_size: 0
    .sgpr_count:     24
    .sgpr_spill_count: 0
    .symbol:         bluestein_single_back_len1664_dim1_half_op_CI_CI.kd
    .uniform_work_group_size: 1
    .uses_dynamic_stack: false
    .vgpr_count:     166
    .vgpr_spill_count: 0
    .wavefront_size: 32
    .workgroup_processor_mode: 1
amdhsa.target:   amdgcn-amd-amdhsa--gfx1030
amdhsa.version:
  - 1
  - 2
...

	.end_amdgpu_metadata
